;; amdgpu-corpus repo=pytorch/pytorch kind=compiled arch=gfx906 opt=O3
	.amdgcn_target "amdgcn-amd-amdhsa--gfx906"
	.amdhsa_code_object_version 6
	.section	.text._ZN2at6native24vectorized_gather_kernelILi16ElEEvPcS2_PT0_illllb,"axG",@progbits,_ZN2at6native24vectorized_gather_kernelILi16ElEEvPcS2_PT0_illllb,comdat
	.protected	_ZN2at6native24vectorized_gather_kernelILi16ElEEvPcS2_PT0_illllb ; -- Begin function _ZN2at6native24vectorized_gather_kernelILi16ElEEvPcS2_PT0_illllb
	.globl	_ZN2at6native24vectorized_gather_kernelILi16ElEEvPcS2_PT0_illllb
	.p2align	8
	.type	_ZN2at6native24vectorized_gather_kernelILi16ElEEvPcS2_PT0_illllb,@function
_ZN2at6native24vectorized_gather_kernelILi16ElEEvPcS2_PT0_illllb: ; @_ZN2at6native24vectorized_gather_kernelILi16ElEEvPcS2_PT0_illllb
; %bb.0:
	s_load_dword s1, s[4:5], 0x40
	s_load_dwordx2 s[2:3], s[4:5], 0x10
	s_mov_b32 s0, s7
	s_mov_b32 s7, 0
	s_waitcnt lgkmcnt(0)
	s_bitcmp1_b32 s1, 0
	s_cselect_b64 s[16:17], -1, 0
	s_lshl_b64 s[8:9], s[6:7], 3
	s_add_u32 s2, s2, s8
	s_addc_u32 s3, s3, s9
	s_load_dwordx2 s[18:19], s[2:3], 0x0
	s_load_dwordx8 s[8:15], s[4:5], 0x20
	s_waitcnt lgkmcnt(0)
	v_cmp_lt_i64_e64 s[2:3], s[18:19], 0
	s_and_b64 s[2:3], s[16:17], s[2:3]
	s_and_b64 s[2:3], s[2:3], exec
	s_cselect_b32 s2, s10, 0
	s_cselect_b32 s1, s11, 0
	s_add_u32 s16, s2, s18
	s_addc_u32 s17, s1, s19
	v_cmp_lt_i64_e64 s[2:3], s[16:17], 0
	s_and_b64 vcc, exec, s[2:3]
	s_cbranch_vccnz .LBB0_8
; %bb.1:
	v_mov_b32_e32 v1, s10
	v_mov_b32_e32 v2, s11
	s_getpc_b64 s[2:3]
	s_add_u32 s2, s2, .str@rel32@lo+4
	s_addc_u32 s3, s3, .str@rel32@hi+12
	v_cmp_ge_i64_e32 vcc, s[16:17], v[1:2]
	s_cmp_eq_u64 s[2:3], 0
	s_cselect_b64 s[2:3], -1, 0
	s_or_b64 s[2:3], vcc, s[2:3]
	s_andn2_b64 vcc, exec, s[2:3]
	s_cbranch_vccz .LBB0_6
; %bb.2:
	s_load_dword s1, s[4:5], 0x54
	s_add_u32 s10, s4, 0x48
	s_addc_u32 s11, s5, 0
	s_waitcnt lgkmcnt(0)
	s_and_b32 s15, s1, 0xffff
	s_mul_i32 s0, s0, s15
	v_add_lshl_u32 v0, s0, v0, 4
	v_ashrrev_i32_e32 v1, 31, v0
	v_cmp_gt_i64_e32 vcc, s[8:9], v[0:1]
	s_and_saveexec_b64 s[0:1], vcc
	s_cbranch_execz .LBB0_5
; %bb.3:
	s_load_dwordx4 s[20:23], s[4:5], 0x0
	s_mul_i32 s4, s16, s13
	s_mul_hi_u32 s5, s16, s12
	s_add_i32 s4, s5, s4
	s_mul_i32 s5, s17, s12
	s_add_i32 s4, s4, s5
	s_mul_i32 s5, s16, s12
	s_waitcnt lgkmcnt(0)
	s_add_u32 s7, s22, s5
	s_load_dword s5, s[10:11], 0x4
	s_addc_u32 s11, s23, s4
	s_mul_i32 s4, s6, s14
	s_add_u32 s6, s20, s4
	s_addc_u32 s12, s21, 0
	s_waitcnt lgkmcnt(0)
	s_mul_i32 s15, s15, s5
	s_lshl_b32 s10, s15, 4
	v_add_u32_e32 v2, s10, v0
	s_mov_b64 s[4:5], 0
	v_mov_b32_e32 v4, s11
	v_mov_b32_e32 v5, s12
.LBB0_4:                                ; =>This Inner Loop Header: Depth=1
	v_add_co_u32_e32 v6, vcc, s7, v0
	v_addc_co_u32_e32 v7, vcc, v4, v1, vcc
	global_load_dwordx4 v[6:9], v[6:7], off
	v_add_co_u32_e32 v10, vcc, s6, v0
	v_addc_co_u32_e32 v11, vcc, v5, v1, vcc
	v_ashrrev_i32_e32 v3, 31, v2
	v_cmp_le_i64_e32 vcc, s[8:9], v[2:3]
	v_mov_b32_e32 v0, v2
	v_mov_b32_e32 v1, v3
	v_add_u32_e32 v2, s10, v2
	s_or_b64 s[4:5], vcc, s[4:5]
	s_waitcnt vmcnt(0)
	global_store_dwordx4 v[10:11], v[6:9], off
	s_andn2_b64 exec, exec, s[4:5]
	s_cbranch_execnz .LBB0_4
.LBB0_5:
	s_or_b64 exec, exec, s[0:1]
.LBB0_6:
	s_and_b64 vcc, exec, s[2:3]
	s_cbranch_vccnz .LBB0_9
.LBB0_7:
	s_endpgm
.LBB0_8:
	s_cbranch_execz .LBB0_7
.LBB0_9:
	s_trap 2
	; divergent unreachable
	s_endpgm
	.section	.rodata,"a",@progbits
	.p2align	6, 0x0
	.amdhsa_kernel _ZN2at6native24vectorized_gather_kernelILi16ElEEvPcS2_PT0_illllb
		.amdhsa_group_segment_fixed_size 0
		.amdhsa_private_segment_fixed_size 0
		.amdhsa_kernarg_size 328
		.amdhsa_user_sgpr_count 6
		.amdhsa_user_sgpr_private_segment_buffer 1
		.amdhsa_user_sgpr_dispatch_ptr 0
		.amdhsa_user_sgpr_queue_ptr 0
		.amdhsa_user_sgpr_kernarg_segment_ptr 1
		.amdhsa_user_sgpr_dispatch_id 0
		.amdhsa_user_sgpr_flat_scratch_init 0
		.amdhsa_user_sgpr_private_segment_size 0
		.amdhsa_uses_dynamic_stack 0
		.amdhsa_system_sgpr_private_segment_wavefront_offset 0
		.amdhsa_system_sgpr_workgroup_id_x 1
		.amdhsa_system_sgpr_workgroup_id_y 1
		.amdhsa_system_sgpr_workgroup_id_z 0
		.amdhsa_system_sgpr_workgroup_info 0
		.amdhsa_system_vgpr_workitem_id 0
		.amdhsa_next_free_vgpr 12
		.amdhsa_next_free_sgpr 24
		.amdhsa_reserve_vcc 1
		.amdhsa_reserve_flat_scratch 0
		.amdhsa_float_round_mode_32 0
		.amdhsa_float_round_mode_16_64 0
		.amdhsa_float_denorm_mode_32 3
		.amdhsa_float_denorm_mode_16_64 3
		.amdhsa_dx10_clamp 1
		.amdhsa_ieee_mode 1
		.amdhsa_fp16_overflow 0
		.amdhsa_exception_fp_ieee_invalid_op 0
		.amdhsa_exception_fp_denorm_src 0
		.amdhsa_exception_fp_ieee_div_zero 0
		.amdhsa_exception_fp_ieee_overflow 0
		.amdhsa_exception_fp_ieee_underflow 0
		.amdhsa_exception_fp_ieee_inexact 0
		.amdhsa_exception_int_div_zero 0
	.end_amdhsa_kernel
	.section	.text._ZN2at6native24vectorized_gather_kernelILi16ElEEvPcS2_PT0_illllb,"axG",@progbits,_ZN2at6native24vectorized_gather_kernelILi16ElEEvPcS2_PT0_illllb,comdat
.Lfunc_end0:
	.size	_ZN2at6native24vectorized_gather_kernelILi16ElEEvPcS2_PT0_illllb, .Lfunc_end0-_ZN2at6native24vectorized_gather_kernelILi16ElEEvPcS2_PT0_illllb
                                        ; -- End function
	.set _ZN2at6native24vectorized_gather_kernelILi16ElEEvPcS2_PT0_illllb.num_vgpr, 12
	.set _ZN2at6native24vectorized_gather_kernelILi16ElEEvPcS2_PT0_illllb.num_agpr, 0
	.set _ZN2at6native24vectorized_gather_kernelILi16ElEEvPcS2_PT0_illllb.numbered_sgpr, 24
	.set _ZN2at6native24vectorized_gather_kernelILi16ElEEvPcS2_PT0_illllb.num_named_barrier, 0
	.set _ZN2at6native24vectorized_gather_kernelILi16ElEEvPcS2_PT0_illllb.private_seg_size, 0
	.set _ZN2at6native24vectorized_gather_kernelILi16ElEEvPcS2_PT0_illllb.uses_vcc, 1
	.set _ZN2at6native24vectorized_gather_kernelILi16ElEEvPcS2_PT0_illllb.uses_flat_scratch, 0
	.set _ZN2at6native24vectorized_gather_kernelILi16ElEEvPcS2_PT0_illllb.has_dyn_sized_stack, 0
	.set _ZN2at6native24vectorized_gather_kernelILi16ElEEvPcS2_PT0_illllb.has_recursion, 0
	.set _ZN2at6native24vectorized_gather_kernelILi16ElEEvPcS2_PT0_illllb.has_indirect_call, 0
	.section	.AMDGPU.csdata,"",@progbits
; Kernel info:
; codeLenInByte = 416
; TotalNumSgprs: 28
; NumVgprs: 12
; ScratchSize: 0
; MemoryBound: 0
; FloatMode: 240
; IeeeMode: 1
; LDSByteSize: 0 bytes/workgroup (compile time only)
; SGPRBlocks: 3
; VGPRBlocks: 2
; NumSGPRsForWavesPerEU: 28
; NumVGPRsForWavesPerEU: 12
; Occupancy: 10
; WaveLimiterHint : 1
; COMPUTE_PGM_RSRC2:SCRATCH_EN: 0
; COMPUTE_PGM_RSRC2:USER_SGPR: 6
; COMPUTE_PGM_RSRC2:TRAP_HANDLER: 0
; COMPUTE_PGM_RSRC2:TGID_X_EN: 1
; COMPUTE_PGM_RSRC2:TGID_Y_EN: 1
; COMPUTE_PGM_RSRC2:TGID_Z_EN: 0
; COMPUTE_PGM_RSRC2:TIDIG_COMP_CNT: 0
	.section	.text._ZN2at6native24vectorized_gather_kernelILi16EiEEvPcS2_PT0_illllb,"axG",@progbits,_ZN2at6native24vectorized_gather_kernelILi16EiEEvPcS2_PT0_illllb,comdat
	.protected	_ZN2at6native24vectorized_gather_kernelILi16EiEEvPcS2_PT0_illllb ; -- Begin function _ZN2at6native24vectorized_gather_kernelILi16EiEEvPcS2_PT0_illllb
	.globl	_ZN2at6native24vectorized_gather_kernelILi16EiEEvPcS2_PT0_illllb
	.p2align	8
	.type	_ZN2at6native24vectorized_gather_kernelILi16EiEEvPcS2_PT0_illllb,@function
_ZN2at6native24vectorized_gather_kernelILi16EiEEvPcS2_PT0_illllb: ; @_ZN2at6native24vectorized_gather_kernelILi16EiEEvPcS2_PT0_illllb
; %bb.0:
	s_load_dword s1, s[4:5], 0x40
	s_load_dwordx2 s[2:3], s[4:5], 0x10
	s_mov_b32 s0, s7
	s_mov_b32 s7, 0
	s_waitcnt lgkmcnt(0)
	s_bitcmp1_b32 s1, 0
	s_cselect_b64 s[16:17], -1, 0
	s_lshl_b64 s[8:9], s[6:7], 2
	s_add_u32 s2, s2, s8
	s_addc_u32 s3, s3, s9
	s_load_dword s18, s[2:3], 0x0
	s_load_dwordx8 s[8:15], s[4:5], 0x20
	s_waitcnt lgkmcnt(0)
	s_ashr_i32 s19, s18, 31
	v_cmp_lt_i64_e64 s[2:3], s[18:19], 0
	s_and_b64 s[2:3], s[16:17], s[2:3]
	s_and_b64 s[2:3], s[2:3], exec
	s_cselect_b32 s2, s10, 0
	s_cselect_b32 s1, s11, 0
	s_add_u32 s16, s2, s18
	s_addc_u32 s17, s1, s19
	v_cmp_lt_i64_e64 s[2:3], s[16:17], 0
	s_and_b64 vcc, exec, s[2:3]
	s_cbranch_vccnz .LBB1_8
; %bb.1:
	v_mov_b32_e32 v1, s10
	v_mov_b32_e32 v2, s11
	s_getpc_b64 s[2:3]
	s_add_u32 s2, s2, .str@rel32@lo+4
	s_addc_u32 s3, s3, .str@rel32@hi+12
	v_cmp_ge_i64_e32 vcc, s[16:17], v[1:2]
	s_cmp_eq_u64 s[2:3], 0
	s_cselect_b64 s[2:3], -1, 0
	s_or_b64 s[2:3], vcc, s[2:3]
	s_andn2_b64 vcc, exec, s[2:3]
	s_cbranch_vccz .LBB1_6
; %bb.2:
	s_load_dword s1, s[4:5], 0x54
	s_add_u32 s10, s4, 0x48
	s_addc_u32 s11, s5, 0
	s_waitcnt lgkmcnt(0)
	s_and_b32 s15, s1, 0xffff
	s_mul_i32 s0, s0, s15
	v_add_lshl_u32 v0, s0, v0, 4
	v_ashrrev_i32_e32 v1, 31, v0
	v_cmp_gt_i64_e32 vcc, s[8:9], v[0:1]
	s_and_saveexec_b64 s[0:1], vcc
	s_cbranch_execz .LBB1_5
; %bb.3:
	s_load_dwordx4 s[20:23], s[4:5], 0x0
	s_mul_i32 s4, s16, s13
	s_mul_hi_u32 s5, s16, s12
	s_add_i32 s4, s5, s4
	s_mul_i32 s5, s17, s12
	s_add_i32 s4, s4, s5
	s_mul_i32 s5, s16, s12
	s_waitcnt lgkmcnt(0)
	s_add_u32 s7, s22, s5
	s_load_dword s5, s[10:11], 0x4
	s_addc_u32 s11, s23, s4
	s_mul_i32 s4, s6, s14
	s_add_u32 s6, s20, s4
	s_addc_u32 s12, s21, 0
	s_waitcnt lgkmcnt(0)
	s_mul_i32 s15, s15, s5
	s_lshl_b32 s10, s15, 4
	v_add_u32_e32 v2, s10, v0
	s_mov_b64 s[4:5], 0
	v_mov_b32_e32 v4, s11
	v_mov_b32_e32 v5, s12
.LBB1_4:                                ; =>This Inner Loop Header: Depth=1
	v_add_co_u32_e32 v6, vcc, s7, v0
	v_addc_co_u32_e32 v7, vcc, v4, v1, vcc
	global_load_dwordx4 v[6:9], v[6:7], off
	v_add_co_u32_e32 v10, vcc, s6, v0
	v_addc_co_u32_e32 v11, vcc, v5, v1, vcc
	v_ashrrev_i32_e32 v3, 31, v2
	v_cmp_le_i64_e32 vcc, s[8:9], v[2:3]
	v_mov_b32_e32 v0, v2
	v_mov_b32_e32 v1, v3
	v_add_u32_e32 v2, s10, v2
	s_or_b64 s[4:5], vcc, s[4:5]
	s_waitcnt vmcnt(0)
	global_store_dwordx4 v[10:11], v[6:9], off
	s_andn2_b64 exec, exec, s[4:5]
	s_cbranch_execnz .LBB1_4
.LBB1_5:
	s_or_b64 exec, exec, s[0:1]
.LBB1_6:
	s_and_b64 vcc, exec, s[2:3]
	s_cbranch_vccnz .LBB1_9
.LBB1_7:
	s_endpgm
.LBB1_8:
	s_cbranch_execz .LBB1_7
.LBB1_9:
	s_trap 2
	; divergent unreachable
	s_endpgm
	.section	.rodata,"a",@progbits
	.p2align	6, 0x0
	.amdhsa_kernel _ZN2at6native24vectorized_gather_kernelILi16EiEEvPcS2_PT0_illllb
		.amdhsa_group_segment_fixed_size 0
		.amdhsa_private_segment_fixed_size 0
		.amdhsa_kernarg_size 328
		.amdhsa_user_sgpr_count 6
		.amdhsa_user_sgpr_private_segment_buffer 1
		.amdhsa_user_sgpr_dispatch_ptr 0
		.amdhsa_user_sgpr_queue_ptr 0
		.amdhsa_user_sgpr_kernarg_segment_ptr 1
		.amdhsa_user_sgpr_dispatch_id 0
		.amdhsa_user_sgpr_flat_scratch_init 0
		.amdhsa_user_sgpr_private_segment_size 0
		.amdhsa_uses_dynamic_stack 0
		.amdhsa_system_sgpr_private_segment_wavefront_offset 0
		.amdhsa_system_sgpr_workgroup_id_x 1
		.amdhsa_system_sgpr_workgroup_id_y 1
		.amdhsa_system_sgpr_workgroup_id_z 0
		.amdhsa_system_sgpr_workgroup_info 0
		.amdhsa_system_vgpr_workitem_id 0
		.amdhsa_next_free_vgpr 12
		.amdhsa_next_free_sgpr 24
		.amdhsa_reserve_vcc 1
		.amdhsa_reserve_flat_scratch 0
		.amdhsa_float_round_mode_32 0
		.amdhsa_float_round_mode_16_64 0
		.amdhsa_float_denorm_mode_32 3
		.amdhsa_float_denorm_mode_16_64 3
		.amdhsa_dx10_clamp 1
		.amdhsa_ieee_mode 1
		.amdhsa_fp16_overflow 0
		.amdhsa_exception_fp_ieee_invalid_op 0
		.amdhsa_exception_fp_denorm_src 0
		.amdhsa_exception_fp_ieee_div_zero 0
		.amdhsa_exception_fp_ieee_overflow 0
		.amdhsa_exception_fp_ieee_underflow 0
		.amdhsa_exception_fp_ieee_inexact 0
		.amdhsa_exception_int_div_zero 0
	.end_amdhsa_kernel
	.section	.text._ZN2at6native24vectorized_gather_kernelILi16EiEEvPcS2_PT0_illllb,"axG",@progbits,_ZN2at6native24vectorized_gather_kernelILi16EiEEvPcS2_PT0_illllb,comdat
.Lfunc_end1:
	.size	_ZN2at6native24vectorized_gather_kernelILi16EiEEvPcS2_PT0_illllb, .Lfunc_end1-_ZN2at6native24vectorized_gather_kernelILi16EiEEvPcS2_PT0_illllb
                                        ; -- End function
	.set _ZN2at6native24vectorized_gather_kernelILi16EiEEvPcS2_PT0_illllb.num_vgpr, 12
	.set _ZN2at6native24vectorized_gather_kernelILi16EiEEvPcS2_PT0_illllb.num_agpr, 0
	.set _ZN2at6native24vectorized_gather_kernelILi16EiEEvPcS2_PT0_illllb.numbered_sgpr, 24
	.set _ZN2at6native24vectorized_gather_kernelILi16EiEEvPcS2_PT0_illllb.num_named_barrier, 0
	.set _ZN2at6native24vectorized_gather_kernelILi16EiEEvPcS2_PT0_illllb.private_seg_size, 0
	.set _ZN2at6native24vectorized_gather_kernelILi16EiEEvPcS2_PT0_illllb.uses_vcc, 1
	.set _ZN2at6native24vectorized_gather_kernelILi16EiEEvPcS2_PT0_illllb.uses_flat_scratch, 0
	.set _ZN2at6native24vectorized_gather_kernelILi16EiEEvPcS2_PT0_illllb.has_dyn_sized_stack, 0
	.set _ZN2at6native24vectorized_gather_kernelILi16EiEEvPcS2_PT0_illllb.has_recursion, 0
	.set _ZN2at6native24vectorized_gather_kernelILi16EiEEvPcS2_PT0_illllb.has_indirect_call, 0
	.section	.AMDGPU.csdata,"",@progbits
; Kernel info:
; codeLenInByte = 420
; TotalNumSgprs: 28
; NumVgprs: 12
; ScratchSize: 0
; MemoryBound: 0
; FloatMode: 240
; IeeeMode: 1
; LDSByteSize: 0 bytes/workgroup (compile time only)
; SGPRBlocks: 3
; VGPRBlocks: 2
; NumSGPRsForWavesPerEU: 28
; NumVGPRsForWavesPerEU: 12
; Occupancy: 10
; WaveLimiterHint : 1
; COMPUTE_PGM_RSRC2:SCRATCH_EN: 0
; COMPUTE_PGM_RSRC2:USER_SGPR: 6
; COMPUTE_PGM_RSRC2:TRAP_HANDLER: 0
; COMPUTE_PGM_RSRC2:TGID_X_EN: 1
; COMPUTE_PGM_RSRC2:TGID_Y_EN: 1
; COMPUTE_PGM_RSRC2:TGID_Z_EN: 0
; COMPUTE_PGM_RSRC2:TIDIG_COMP_CNT: 0
	.section	.text._ZN2at6native29vectorized_scatter_add_kernelILi16EflEEvPT0_PKS2_PKT1_illllii,"axG",@progbits,_ZN2at6native29vectorized_scatter_add_kernelILi16EflEEvPT0_PKS2_PKT1_illllii,comdat
	.protected	_ZN2at6native29vectorized_scatter_add_kernelILi16EflEEvPT0_PKS2_PKT1_illllii ; -- Begin function _ZN2at6native29vectorized_scatter_add_kernelILi16EflEEvPT0_PKS2_PKT1_illllii
	.globl	_ZN2at6native29vectorized_scatter_add_kernelILi16EflEEvPT0_PKS2_PKT1_illllii
	.p2align	8
	.type	_ZN2at6native29vectorized_scatter_add_kernelILi16EflEEvPT0_PKS2_PKT1_illllii,@function
_ZN2at6native29vectorized_scatter_add_kernelILi16EflEEvPT0_PKS2_PKT1_illllii: ; @_ZN2at6native29vectorized_scatter_add_kernelILi16EflEEvPT0_PKS2_PKT1_illllii
; %bb.0:
	s_load_dwordx2 s[16:17], s[4:5], 0x40
	s_waitcnt lgkmcnt(0)
	v_cvt_f32_u32_e32 v1, s16
	s_sub_i32 s0, 0, s16
	s_mul_i32 s1, s17, s6
	v_rcp_iflag_f32_e32 v1, v1
	v_mul_f32_e32 v1, 0x4f7ffffe, v1
	v_cvt_u32_f32_e32 v1, v1
	v_mul_lo_u32 v2, s0, v1
	s_load_dword s0, s[4:5], 0x18
	v_mul_hi_u32 v2, v1, v2
	v_add_u32_e32 v1, v1, v2
	v_mul_hi_u32 v1, v0, v1
	v_mul_lo_u32 v2, v1, s16
	v_add_u32_e32 v3, 1, v1
	v_sub_u32_e32 v2, v0, v2
	v_cmp_le_u32_e32 vcc, s16, v2
	v_cndmask_b32_e32 v1, v1, v3, vcc
	v_subrev_u32_e32 v3, s16, v2
	v_cndmask_b32_e32 v2, v2, v3, vcc
	v_add_u32_e32 v3, 1, v1
	v_cmp_le_u32_e32 vcc, s16, v2
	v_cndmask_b32_e32 v4, v1, v3, vcc
	v_add_u32_e32 v1, s1, v4
	s_waitcnt lgkmcnt(0)
	v_cmp_gt_i32_e32 vcc, s0, v1
	s_and_saveexec_b64 s[0:1], vcc
	s_cbranch_execz .LBB2_16
; %bb.1:
	s_load_dwordx2 s[0:1], s[4:5], 0x10
	v_ashrrev_i32_e32 v2, 31, v1
	v_lshlrev_b64 v[2:3], 3, v[1:2]
	s_mov_b64 s[2:3], -1
	s_waitcnt lgkmcnt(0)
	v_mov_b32_e32 v5, s1
	v_add_co_u32_e32 v2, vcc, s0, v2
	v_addc_co_u32_e32 v3, vcc, v5, v3, vcc
	global_load_dwordx2 v[2:3], v[2:3], off
	s_waitcnt vmcnt(0)
	v_cmp_lt_i64_e32 vcc, -1, v[2:3]
	s_and_saveexec_b64 s[0:1], vcc
	s_cbranch_execz .LBB2_15
; %bb.2:
	s_load_dwordx8 s[8:15], s[4:5], 0x20
	s_getpc_b64 s[2:3]
	s_add_u32 s2, s2, .str.1@rel32@lo+4
	s_addc_u32 s3, s3, .str.1@rel32@hi+12
	s_cmp_eq_u64 s[2:3], 0
	s_cselect_b64 s[2:3], -1, 0
	s_waitcnt lgkmcnt(0)
	v_cmp_le_i64_e32 vcc, s[10:11], v[2:3]
	s_or_b64 s[2:3], vcc, s[2:3]
	s_xor_b64 s[18:19], s[2:3], -1
	s_and_saveexec_b64 s[10:11], s[18:19]
	s_cbranch_execz .LBB2_14
; %bb.3:
	v_sub_u32_e32 v4, s7, v4
	v_mul_lo_u32 v4, v4, s16
	v_add_lshl_u32 v4, v4, v0, 4
	v_ashrrev_i32_e32 v5, 31, v4
	v_cmp_gt_i64_e32 vcc, s[8:9], v[4:5]
	s_and_b64 exec, exec, vcc
	s_cbranch_execz .LBB2_14
; %bb.4:
	s_load_dwordx4 s[20:23], s[4:5], 0x0
	s_load_dword s6, s[4:5], 0x4c
	v_mul_lo_u32 v9, v1, s14
	v_mul_lo_u32 v8, v2, s13
	;; [unrolled: 1-line block ×3, first 2 shown]
	s_waitcnt lgkmcnt(0)
	v_mov_b32_e32 v0, s20
	v_mov_b32_e32 v1, s21
	v_mad_u64_u32 v[6:7], s[4:5], v2, s12, v[0:1]
	v_ashrrev_i32_e32 v0, 31, v9
	v_mov_b32_e32 v1, s23
	v_add_co_u32_e32 v12, vcc, s22, v9
	s_mul_i32 s4, s16, s6
	v_add3_u32 v7, v3, v7, v8
	v_addc_co_u32_e32 v13, vcc, v1, v0, vcc
	s_lshl_b32 s12, s4, 4
	s_mov_b64 s[4:5], 0
.LBB2_5:                                ; =>This Loop Header: Depth=1
                                        ;     Child Loop BB2_6 Depth 2
                                        ;     Child Loop BB2_8 Depth 2
	;; [unrolled: 1-line block ×4, first 2 shown]
	v_add_co_u32_e32 v0, vcc, v12, v4
	v_addc_co_u32_e32 v1, vcc, v13, v5, vcc
	v_add_co_u32_e32 v8, vcc, v6, v4
	v_addc_co_u32_e32 v9, vcc, v7, v5, vcc
	global_load_dwordx4 v[0:3], v[0:1], off
	s_mov_b64 s[6:7], 0
	global_load_dword v11, v[8:9], off
.LBB2_6:                                ;   Parent Loop BB2_5 Depth=1
                                        ; =>  This Inner Loop Header: Depth=2
	s_waitcnt vmcnt(0)
	v_add_f32_e32 v10, v11, v0
	global_atomic_cmpswap v5, v[8:9], v[10:11], off glc
	s_waitcnt vmcnt(0)
	v_cmp_eq_u32_e32 vcc, v5, v11
	s_or_b64 s[6:7], vcc, s[6:7]
	v_mov_b32_e32 v11, v5
	s_andn2_b64 exec, exec, s[6:7]
	s_cbranch_execnz .LBB2_6
; %bb.7:                                ;   in Loop: Header=BB2_5 Depth=1
	s_or_b64 exec, exec, s[6:7]
	global_load_dword v11, v[8:9], off offset:4
	s_mov_b64 s[6:7], 0
.LBB2_8:                                ;   Parent Loop BB2_5 Depth=1
                                        ; =>  This Inner Loop Header: Depth=2
	s_waitcnt vmcnt(0)
	v_add_f32_e32 v10, v11, v1
	global_atomic_cmpswap v0, v[8:9], v[10:11], off offset:4 glc
	s_waitcnt vmcnt(0)
	v_cmp_eq_u32_e32 vcc, v0, v11
	s_or_b64 s[6:7], vcc, s[6:7]
	v_mov_b32_e32 v11, v0
	s_andn2_b64 exec, exec, s[6:7]
	s_cbranch_execnz .LBB2_8
; %bb.9:                                ;   in Loop: Header=BB2_5 Depth=1
	s_or_b64 exec, exec, s[6:7]
	global_load_dword v1, v[8:9], off offset:8
	s_mov_b64 s[6:7], 0
.LBB2_10:                               ;   Parent Loop BB2_5 Depth=1
                                        ; =>  This Inner Loop Header: Depth=2
	s_waitcnt vmcnt(0)
	v_add_f32_e32 v0, v1, v2
	global_atomic_cmpswap v0, v[8:9], v[0:1], off offset:8 glc
	s_waitcnt vmcnt(0)
	v_cmp_eq_u32_e32 vcc, v0, v1
	s_or_b64 s[6:7], vcc, s[6:7]
	v_mov_b32_e32 v1, v0
	s_andn2_b64 exec, exec, s[6:7]
	s_cbranch_execnz .LBB2_10
; %bb.11:                               ;   in Loop: Header=BB2_5 Depth=1
	s_or_b64 exec, exec, s[6:7]
	global_load_dword v1, v[8:9], off offset:12
	s_mov_b64 s[6:7], 0
.LBB2_12:                               ;   Parent Loop BB2_5 Depth=1
                                        ; =>  This Inner Loop Header: Depth=2
	s_waitcnt vmcnt(0)
	v_add_f32_e32 v0, v1, v3
	global_atomic_cmpswap v0, v[8:9], v[0:1], off offset:12 glc
	s_waitcnt vmcnt(0)
	v_cmp_eq_u32_e32 vcc, v0, v1
	s_or_b64 s[6:7], vcc, s[6:7]
	v_mov_b32_e32 v1, v0
	s_andn2_b64 exec, exec, s[6:7]
	s_cbranch_execnz .LBB2_12
; %bb.13:                               ;   in Loop: Header=BB2_5 Depth=1
	s_or_b64 exec, exec, s[6:7]
	v_add_u32_e32 v4, s12, v4
	v_ashrrev_i32_e32 v5, 31, v4
	v_cmp_le_i64_e32 vcc, s[8:9], v[4:5]
	s_or_b64 s[4:5], vcc, s[4:5]
	s_andn2_b64 exec, exec, s[4:5]
	s_cbranch_execnz .LBB2_5
.LBB2_14:
	s_or_b64 exec, exec, s[10:11]
	s_orn2_b64 s[2:3], s[2:3], exec
.LBB2_15:
	s_or_b64 exec, exec, s[0:1]
	s_and_b64 exec, exec, s[2:3]
	s_cbranch_execnz .LBB2_17
.LBB2_16:
	s_endpgm
.LBB2_17:
	s_trap 2
	; divergent unreachable
	s_endpgm
	.section	.rodata,"a",@progbits
	.p2align	6, 0x0
	.amdhsa_kernel _ZN2at6native29vectorized_scatter_add_kernelILi16EflEEvPT0_PKS2_PKT1_illllii
		.amdhsa_group_segment_fixed_size 0
		.amdhsa_private_segment_fixed_size 0
		.amdhsa_kernarg_size 328
		.amdhsa_user_sgpr_count 6
		.amdhsa_user_sgpr_private_segment_buffer 1
		.amdhsa_user_sgpr_dispatch_ptr 0
		.amdhsa_user_sgpr_queue_ptr 0
		.amdhsa_user_sgpr_kernarg_segment_ptr 1
		.amdhsa_user_sgpr_dispatch_id 0
		.amdhsa_user_sgpr_flat_scratch_init 0
		.amdhsa_user_sgpr_private_segment_size 0
		.amdhsa_uses_dynamic_stack 0
		.amdhsa_system_sgpr_private_segment_wavefront_offset 0
		.amdhsa_system_sgpr_workgroup_id_x 1
		.amdhsa_system_sgpr_workgroup_id_y 1
		.amdhsa_system_sgpr_workgroup_id_z 0
		.amdhsa_system_sgpr_workgroup_info 0
		.amdhsa_system_vgpr_workitem_id 0
		.amdhsa_next_free_vgpr 14
		.amdhsa_next_free_sgpr 24
		.amdhsa_reserve_vcc 1
		.amdhsa_reserve_flat_scratch 0
		.amdhsa_float_round_mode_32 0
		.amdhsa_float_round_mode_16_64 0
		.amdhsa_float_denorm_mode_32 3
		.amdhsa_float_denorm_mode_16_64 3
		.amdhsa_dx10_clamp 1
		.amdhsa_ieee_mode 1
		.amdhsa_fp16_overflow 0
		.amdhsa_exception_fp_ieee_invalid_op 0
		.amdhsa_exception_fp_denorm_src 0
		.amdhsa_exception_fp_ieee_div_zero 0
		.amdhsa_exception_fp_ieee_overflow 0
		.amdhsa_exception_fp_ieee_underflow 0
		.amdhsa_exception_fp_ieee_inexact 0
		.amdhsa_exception_int_div_zero 0
	.end_amdhsa_kernel
	.section	.text._ZN2at6native29vectorized_scatter_add_kernelILi16EflEEvPT0_PKS2_PKT1_illllii,"axG",@progbits,_ZN2at6native29vectorized_scatter_add_kernelILi16EflEEvPT0_PKS2_PKT1_illllii,comdat
.Lfunc_end2:
	.size	_ZN2at6native29vectorized_scatter_add_kernelILi16EflEEvPT0_PKS2_PKT1_illllii, .Lfunc_end2-_ZN2at6native29vectorized_scatter_add_kernelILi16EflEEvPT0_PKS2_PKT1_illllii
                                        ; -- End function
	.set _ZN2at6native29vectorized_scatter_add_kernelILi16EflEEvPT0_PKS2_PKT1_illllii.num_vgpr, 14
	.set _ZN2at6native29vectorized_scatter_add_kernelILi16EflEEvPT0_PKS2_PKT1_illllii.num_agpr, 0
	.set _ZN2at6native29vectorized_scatter_add_kernelILi16EflEEvPT0_PKS2_PKT1_illllii.numbered_sgpr, 24
	.set _ZN2at6native29vectorized_scatter_add_kernelILi16EflEEvPT0_PKS2_PKT1_illllii.num_named_barrier, 0
	.set _ZN2at6native29vectorized_scatter_add_kernelILi16EflEEvPT0_PKS2_PKT1_illllii.private_seg_size, 0
	.set _ZN2at6native29vectorized_scatter_add_kernelILi16EflEEvPT0_PKS2_PKT1_illllii.uses_vcc, 1
	.set _ZN2at6native29vectorized_scatter_add_kernelILi16EflEEvPT0_PKS2_PKT1_illllii.uses_flat_scratch, 0
	.set _ZN2at6native29vectorized_scatter_add_kernelILi16EflEEvPT0_PKS2_PKT1_illllii.has_dyn_sized_stack, 0
	.set _ZN2at6native29vectorized_scatter_add_kernelILi16EflEEvPT0_PKS2_PKT1_illllii.has_recursion, 0
	.set _ZN2at6native29vectorized_scatter_add_kernelILi16EflEEvPT0_PKS2_PKT1_illllii.has_indirect_call, 0
	.section	.AMDGPU.csdata,"",@progbits
; Kernel info:
; codeLenInByte = 700
; TotalNumSgprs: 28
; NumVgprs: 14
; ScratchSize: 0
; MemoryBound: 0
; FloatMode: 240
; IeeeMode: 1
; LDSByteSize: 0 bytes/workgroup (compile time only)
; SGPRBlocks: 3
; VGPRBlocks: 3
; NumSGPRsForWavesPerEU: 28
; NumVGPRsForWavesPerEU: 14
; Occupancy: 10
; WaveLimiterHint : 1
; COMPUTE_PGM_RSRC2:SCRATCH_EN: 0
; COMPUTE_PGM_RSRC2:USER_SGPR: 6
; COMPUTE_PGM_RSRC2:TRAP_HANDLER: 0
; COMPUTE_PGM_RSRC2:TGID_X_EN: 1
; COMPUTE_PGM_RSRC2:TGID_Y_EN: 1
; COMPUTE_PGM_RSRC2:TGID_Z_EN: 0
; COMPUTE_PGM_RSRC2:TIDIG_COMP_CNT: 0
	.section	.text._ZN2at6native29vectorized_scatter_add_kernelILi16EfiEEvPT0_PKS2_PKT1_illllii,"axG",@progbits,_ZN2at6native29vectorized_scatter_add_kernelILi16EfiEEvPT0_PKS2_PKT1_illllii,comdat
	.protected	_ZN2at6native29vectorized_scatter_add_kernelILi16EfiEEvPT0_PKS2_PKT1_illllii ; -- Begin function _ZN2at6native29vectorized_scatter_add_kernelILi16EfiEEvPT0_PKS2_PKT1_illllii
	.globl	_ZN2at6native29vectorized_scatter_add_kernelILi16EfiEEvPT0_PKS2_PKT1_illllii
	.p2align	8
	.type	_ZN2at6native29vectorized_scatter_add_kernelILi16EfiEEvPT0_PKS2_PKT1_illllii,@function
_ZN2at6native29vectorized_scatter_add_kernelILi16EfiEEvPT0_PKS2_PKT1_illllii: ; @_ZN2at6native29vectorized_scatter_add_kernelILi16EfiEEvPT0_PKS2_PKT1_illllii
; %bb.0:
	s_load_dwordx2 s[16:17], s[4:5], 0x40
	s_waitcnt lgkmcnt(0)
	v_cvt_f32_u32_e32 v1, s16
	s_sub_i32 s0, 0, s16
	s_mul_i32 s1, s17, s6
	v_rcp_iflag_f32_e32 v1, v1
	v_mul_f32_e32 v1, 0x4f7ffffe, v1
	v_cvt_u32_f32_e32 v1, v1
	v_mul_lo_u32 v2, s0, v1
	s_load_dword s0, s[4:5], 0x18
	v_mul_hi_u32 v2, v1, v2
	v_add_u32_e32 v1, v1, v2
	v_mul_hi_u32 v1, v0, v1
	v_mul_lo_u32 v2, v1, s16
	v_add_u32_e32 v3, 1, v1
	v_sub_u32_e32 v2, v0, v2
	v_cmp_le_u32_e32 vcc, s16, v2
	v_cndmask_b32_e32 v1, v1, v3, vcc
	v_subrev_u32_e32 v3, s16, v2
	v_cndmask_b32_e32 v2, v2, v3, vcc
	v_add_u32_e32 v3, 1, v1
	v_cmp_le_u32_e32 vcc, s16, v2
	v_cndmask_b32_e32 v4, v1, v3, vcc
	v_add_u32_e32 v1, s1, v4
	s_waitcnt lgkmcnt(0)
	v_cmp_gt_i32_e32 vcc, s0, v1
	s_and_saveexec_b64 s[0:1], vcc
	s_cbranch_execz .LBB3_16
; %bb.1:
	s_load_dwordx2 s[0:1], s[4:5], 0x10
	v_ashrrev_i32_e32 v2, 31, v1
	v_lshlrev_b64 v[2:3], 2, v[1:2]
	s_mov_b64 s[2:3], -1
	s_waitcnt lgkmcnt(0)
	v_mov_b32_e32 v5, s1
	v_add_co_u32_e32 v2, vcc, s0, v2
	v_addc_co_u32_e32 v3, vcc, v5, v3, vcc
	global_load_dword v2, v[2:3], off
	s_waitcnt vmcnt(0)
	v_cmp_lt_i32_e32 vcc, -1, v2
	s_and_saveexec_b64 s[0:1], vcc
	s_cbranch_execz .LBB3_15
; %bb.2:
	s_load_dwordx8 s[8:15], s[4:5], 0x20
	v_ashrrev_i32_e32 v3, 31, v2
	s_getpc_b64 s[2:3]
	s_add_u32 s2, s2, .str.1@rel32@lo+4
	s_addc_u32 s3, s3, .str.1@rel32@hi+12
	s_cmp_eq_u64 s[2:3], 0
	s_cselect_b64 s[2:3], -1, 0
	s_waitcnt lgkmcnt(0)
	v_cmp_le_i64_e32 vcc, s[10:11], v[2:3]
	s_or_b64 s[2:3], vcc, s[2:3]
	s_xor_b64 s[18:19], s[2:3], -1
	s_and_saveexec_b64 s[10:11], s[18:19]
	s_cbranch_execz .LBB3_14
; %bb.3:
	v_sub_u32_e32 v4, s7, v4
	v_mul_lo_u32 v4, v4, s16
	v_add_lshl_u32 v4, v4, v0, 4
	v_ashrrev_i32_e32 v5, 31, v4
	v_cmp_gt_i64_e32 vcc, s[8:9], v[4:5]
	s_and_b64 exec, exec, vcc
	s_cbranch_execz .LBB3_14
; %bb.4:
	s_load_dwordx4 s[20:23], s[4:5], 0x0
	s_load_dword s6, s[4:5], 0x4c
	v_mul_lo_u32 v9, v1, s14
	v_mul_lo_u32 v3, s12, v3
	;; [unrolled: 1-line block ×3, first 2 shown]
	s_waitcnt lgkmcnt(0)
	v_mov_b32_e32 v0, s20
	v_mov_b32_e32 v1, s21
	v_mad_u64_u32 v[6:7], s[4:5], s12, v2, v[0:1]
	v_ashrrev_i32_e32 v0, 31, v9
	v_mov_b32_e32 v1, s23
	v_add_co_u32_e32 v12, vcc, s22, v9
	s_mul_i32 s4, s16, s6
	v_add3_u32 v7, v8, v7, v3
	v_addc_co_u32_e32 v13, vcc, v1, v0, vcc
	s_lshl_b32 s12, s4, 4
	s_mov_b64 s[4:5], 0
.LBB3_5:                                ; =>This Loop Header: Depth=1
                                        ;     Child Loop BB3_6 Depth 2
                                        ;     Child Loop BB3_8 Depth 2
	;; [unrolled: 1-line block ×4, first 2 shown]
	v_add_co_u32_e32 v0, vcc, v12, v4
	v_addc_co_u32_e32 v1, vcc, v13, v5, vcc
	v_add_co_u32_e32 v8, vcc, v6, v4
	v_addc_co_u32_e32 v9, vcc, v7, v5, vcc
	global_load_dwordx4 v[0:3], v[0:1], off
	s_mov_b64 s[6:7], 0
	global_load_dword v11, v[8:9], off
.LBB3_6:                                ;   Parent Loop BB3_5 Depth=1
                                        ; =>  This Inner Loop Header: Depth=2
	s_waitcnt vmcnt(0)
	v_add_f32_e32 v10, v11, v0
	global_atomic_cmpswap v5, v[8:9], v[10:11], off glc
	s_waitcnt vmcnt(0)
	v_cmp_eq_u32_e32 vcc, v5, v11
	s_or_b64 s[6:7], vcc, s[6:7]
	v_mov_b32_e32 v11, v5
	s_andn2_b64 exec, exec, s[6:7]
	s_cbranch_execnz .LBB3_6
; %bb.7:                                ;   in Loop: Header=BB3_5 Depth=1
	s_or_b64 exec, exec, s[6:7]
	global_load_dword v11, v[8:9], off offset:4
	s_mov_b64 s[6:7], 0
.LBB3_8:                                ;   Parent Loop BB3_5 Depth=1
                                        ; =>  This Inner Loop Header: Depth=2
	s_waitcnt vmcnt(0)
	v_add_f32_e32 v10, v11, v1
	global_atomic_cmpswap v0, v[8:9], v[10:11], off offset:4 glc
	s_waitcnt vmcnt(0)
	v_cmp_eq_u32_e32 vcc, v0, v11
	s_or_b64 s[6:7], vcc, s[6:7]
	v_mov_b32_e32 v11, v0
	s_andn2_b64 exec, exec, s[6:7]
	s_cbranch_execnz .LBB3_8
; %bb.9:                                ;   in Loop: Header=BB3_5 Depth=1
	s_or_b64 exec, exec, s[6:7]
	global_load_dword v1, v[8:9], off offset:8
	s_mov_b64 s[6:7], 0
.LBB3_10:                               ;   Parent Loop BB3_5 Depth=1
                                        ; =>  This Inner Loop Header: Depth=2
	s_waitcnt vmcnt(0)
	v_add_f32_e32 v0, v1, v2
	global_atomic_cmpswap v0, v[8:9], v[0:1], off offset:8 glc
	s_waitcnt vmcnt(0)
	v_cmp_eq_u32_e32 vcc, v0, v1
	s_or_b64 s[6:7], vcc, s[6:7]
	v_mov_b32_e32 v1, v0
	s_andn2_b64 exec, exec, s[6:7]
	s_cbranch_execnz .LBB3_10
; %bb.11:                               ;   in Loop: Header=BB3_5 Depth=1
	s_or_b64 exec, exec, s[6:7]
	global_load_dword v1, v[8:9], off offset:12
	s_mov_b64 s[6:7], 0
.LBB3_12:                               ;   Parent Loop BB3_5 Depth=1
                                        ; =>  This Inner Loop Header: Depth=2
	s_waitcnt vmcnt(0)
	v_add_f32_e32 v0, v1, v3
	global_atomic_cmpswap v0, v[8:9], v[0:1], off offset:12 glc
	s_waitcnt vmcnt(0)
	v_cmp_eq_u32_e32 vcc, v0, v1
	s_or_b64 s[6:7], vcc, s[6:7]
	v_mov_b32_e32 v1, v0
	s_andn2_b64 exec, exec, s[6:7]
	s_cbranch_execnz .LBB3_12
; %bb.13:                               ;   in Loop: Header=BB3_5 Depth=1
	s_or_b64 exec, exec, s[6:7]
	v_add_u32_e32 v4, s12, v4
	v_ashrrev_i32_e32 v5, 31, v4
	v_cmp_le_i64_e32 vcc, s[8:9], v[4:5]
	s_or_b64 s[4:5], vcc, s[4:5]
	s_andn2_b64 exec, exec, s[4:5]
	s_cbranch_execnz .LBB3_5
.LBB3_14:
	s_or_b64 exec, exec, s[10:11]
	s_orn2_b64 s[2:3], s[2:3], exec
.LBB3_15:
	s_or_b64 exec, exec, s[0:1]
	s_and_b64 exec, exec, s[2:3]
	s_cbranch_execnz .LBB3_17
.LBB3_16:
	s_endpgm
.LBB3_17:
	s_trap 2
	; divergent unreachable
	s_endpgm
	.section	.rodata,"a",@progbits
	.p2align	6, 0x0
	.amdhsa_kernel _ZN2at6native29vectorized_scatter_add_kernelILi16EfiEEvPT0_PKS2_PKT1_illllii
		.amdhsa_group_segment_fixed_size 0
		.amdhsa_private_segment_fixed_size 0
		.amdhsa_kernarg_size 328
		.amdhsa_user_sgpr_count 6
		.amdhsa_user_sgpr_private_segment_buffer 1
		.amdhsa_user_sgpr_dispatch_ptr 0
		.amdhsa_user_sgpr_queue_ptr 0
		.amdhsa_user_sgpr_kernarg_segment_ptr 1
		.amdhsa_user_sgpr_dispatch_id 0
		.amdhsa_user_sgpr_flat_scratch_init 0
		.amdhsa_user_sgpr_private_segment_size 0
		.amdhsa_uses_dynamic_stack 0
		.amdhsa_system_sgpr_private_segment_wavefront_offset 0
		.amdhsa_system_sgpr_workgroup_id_x 1
		.amdhsa_system_sgpr_workgroup_id_y 1
		.amdhsa_system_sgpr_workgroup_id_z 0
		.amdhsa_system_sgpr_workgroup_info 0
		.amdhsa_system_vgpr_workitem_id 0
		.amdhsa_next_free_vgpr 14
		.amdhsa_next_free_sgpr 24
		.amdhsa_reserve_vcc 1
		.amdhsa_reserve_flat_scratch 0
		.amdhsa_float_round_mode_32 0
		.amdhsa_float_round_mode_16_64 0
		.amdhsa_float_denorm_mode_32 3
		.amdhsa_float_denorm_mode_16_64 3
		.amdhsa_dx10_clamp 1
		.amdhsa_ieee_mode 1
		.amdhsa_fp16_overflow 0
		.amdhsa_exception_fp_ieee_invalid_op 0
		.amdhsa_exception_fp_denorm_src 0
		.amdhsa_exception_fp_ieee_div_zero 0
		.amdhsa_exception_fp_ieee_overflow 0
		.amdhsa_exception_fp_ieee_underflow 0
		.amdhsa_exception_fp_ieee_inexact 0
		.amdhsa_exception_int_div_zero 0
	.end_amdhsa_kernel
	.section	.text._ZN2at6native29vectorized_scatter_add_kernelILi16EfiEEvPT0_PKS2_PKT1_illllii,"axG",@progbits,_ZN2at6native29vectorized_scatter_add_kernelILi16EfiEEvPT0_PKS2_PKT1_illllii,comdat
.Lfunc_end3:
	.size	_ZN2at6native29vectorized_scatter_add_kernelILi16EfiEEvPT0_PKS2_PKT1_illllii, .Lfunc_end3-_ZN2at6native29vectorized_scatter_add_kernelILi16EfiEEvPT0_PKS2_PKT1_illllii
                                        ; -- End function
	.set _ZN2at6native29vectorized_scatter_add_kernelILi16EfiEEvPT0_PKS2_PKT1_illllii.num_vgpr, 14
	.set _ZN2at6native29vectorized_scatter_add_kernelILi16EfiEEvPT0_PKS2_PKT1_illllii.num_agpr, 0
	.set _ZN2at6native29vectorized_scatter_add_kernelILi16EfiEEvPT0_PKS2_PKT1_illllii.numbered_sgpr, 24
	.set _ZN2at6native29vectorized_scatter_add_kernelILi16EfiEEvPT0_PKS2_PKT1_illllii.num_named_barrier, 0
	.set _ZN2at6native29vectorized_scatter_add_kernelILi16EfiEEvPT0_PKS2_PKT1_illllii.private_seg_size, 0
	.set _ZN2at6native29vectorized_scatter_add_kernelILi16EfiEEvPT0_PKS2_PKT1_illllii.uses_vcc, 1
	.set _ZN2at6native29vectorized_scatter_add_kernelILi16EfiEEvPT0_PKS2_PKT1_illllii.uses_flat_scratch, 0
	.set _ZN2at6native29vectorized_scatter_add_kernelILi16EfiEEvPT0_PKS2_PKT1_illllii.has_dyn_sized_stack, 0
	.set _ZN2at6native29vectorized_scatter_add_kernelILi16EfiEEvPT0_PKS2_PKT1_illllii.has_recursion, 0
	.set _ZN2at6native29vectorized_scatter_add_kernelILi16EfiEEvPT0_PKS2_PKT1_illllii.has_indirect_call, 0
	.section	.AMDGPU.csdata,"",@progbits
; Kernel info:
; codeLenInByte = 704
; TotalNumSgprs: 28
; NumVgprs: 14
; ScratchSize: 0
; MemoryBound: 0
; FloatMode: 240
; IeeeMode: 1
; LDSByteSize: 0 bytes/workgroup (compile time only)
; SGPRBlocks: 3
; VGPRBlocks: 3
; NumSGPRsForWavesPerEU: 28
; NumVGPRsForWavesPerEU: 14
; Occupancy: 10
; WaveLimiterHint : 1
; COMPUTE_PGM_RSRC2:SCRATCH_EN: 0
; COMPUTE_PGM_RSRC2:USER_SGPR: 6
; COMPUTE_PGM_RSRC2:TRAP_HANDLER: 0
; COMPUTE_PGM_RSRC2:TGID_X_EN: 1
; COMPUTE_PGM_RSRC2:TGID_Y_EN: 1
; COMPUTE_PGM_RSRC2:TGID_Z_EN: 0
; COMPUTE_PGM_RSRC2:TIDIG_COMP_CNT: 0
	.section	.text._ZN2at6native29vectorized_scatter_add_kernelILi16EdlEEvPT0_PKS2_PKT1_illllii,"axG",@progbits,_ZN2at6native29vectorized_scatter_add_kernelILi16EdlEEvPT0_PKS2_PKT1_illllii,comdat
	.protected	_ZN2at6native29vectorized_scatter_add_kernelILi16EdlEEvPT0_PKS2_PKT1_illllii ; -- Begin function _ZN2at6native29vectorized_scatter_add_kernelILi16EdlEEvPT0_PKS2_PKT1_illllii
	.globl	_ZN2at6native29vectorized_scatter_add_kernelILi16EdlEEvPT0_PKS2_PKT1_illllii
	.p2align	8
	.type	_ZN2at6native29vectorized_scatter_add_kernelILi16EdlEEvPT0_PKS2_PKT1_illllii,@function
_ZN2at6native29vectorized_scatter_add_kernelILi16EdlEEvPT0_PKS2_PKT1_illllii: ; @_ZN2at6native29vectorized_scatter_add_kernelILi16EdlEEvPT0_PKS2_PKT1_illllii
; %bb.0:
	s_load_dwordx2 s[16:17], s[4:5], 0x40
	s_waitcnt lgkmcnt(0)
	v_cvt_f32_u32_e32 v1, s16
	s_sub_i32 s0, 0, s16
	s_mul_i32 s1, s17, s6
	v_rcp_iflag_f32_e32 v1, v1
	v_mul_f32_e32 v1, 0x4f7ffffe, v1
	v_cvt_u32_f32_e32 v1, v1
	v_mul_lo_u32 v2, s0, v1
	s_load_dword s0, s[4:5], 0x18
	v_mul_hi_u32 v2, v1, v2
	v_add_u32_e32 v1, v1, v2
	v_mul_hi_u32 v1, v0, v1
	v_mul_lo_u32 v2, v1, s16
	v_add_u32_e32 v3, 1, v1
	v_sub_u32_e32 v2, v0, v2
	v_cmp_le_u32_e32 vcc, s16, v2
	v_cndmask_b32_e32 v1, v1, v3, vcc
	v_subrev_u32_e32 v3, s16, v2
	v_cndmask_b32_e32 v2, v2, v3, vcc
	v_add_u32_e32 v3, 1, v1
	v_cmp_le_u32_e32 vcc, s16, v2
	v_cndmask_b32_e32 v4, v1, v3, vcc
	v_add_u32_e32 v1, s1, v4
	s_waitcnt lgkmcnt(0)
	v_cmp_gt_i32_e32 vcc, s0, v1
	s_and_saveexec_b64 s[0:1], vcc
	s_cbranch_execz .LBB4_12
; %bb.1:
	s_load_dwordx2 s[0:1], s[4:5], 0x10
	v_ashrrev_i32_e32 v2, 31, v1
	v_lshlrev_b64 v[2:3], 3, v[1:2]
	s_mov_b64 s[2:3], -1
	s_waitcnt lgkmcnt(0)
	v_mov_b32_e32 v5, s1
	v_add_co_u32_e32 v2, vcc, s0, v2
	v_addc_co_u32_e32 v3, vcc, v5, v3, vcc
	global_load_dwordx2 v[2:3], v[2:3], off
	s_waitcnt vmcnt(0)
	v_cmp_lt_i64_e32 vcc, -1, v[2:3]
	s_and_saveexec_b64 s[0:1], vcc
	s_cbranch_execz .LBB4_11
; %bb.2:
	s_load_dwordx8 s[8:15], s[4:5], 0x20
	s_getpc_b64 s[2:3]
	s_add_u32 s2, s2, .str.1@rel32@lo+4
	s_addc_u32 s3, s3, .str.1@rel32@hi+12
	s_cmp_eq_u64 s[2:3], 0
	s_cselect_b64 s[2:3], -1, 0
	s_waitcnt lgkmcnt(0)
	v_cmp_le_i64_e32 vcc, s[10:11], v[2:3]
	s_or_b64 s[2:3], vcc, s[2:3]
	s_xor_b64 s[18:19], s[2:3], -1
	s_and_saveexec_b64 s[10:11], s[18:19]
	s_cbranch_execz .LBB4_10
; %bb.3:
	v_sub_u32_e32 v4, s7, v4
	v_mul_lo_u32 v4, v4, s16
	v_add_lshl_u32 v8, v4, v0, 4
	v_ashrrev_i32_e32 v9, 31, v8
	v_cmp_gt_i64_e32 vcc, s[8:9], v[8:9]
	s_and_b64 exec, exec, vcc
	s_cbranch_execz .LBB4_10
; %bb.4:
	s_load_dwordx4 s[20:23], s[4:5], 0x0
	s_load_dword s6, s[4:5], 0x4c
	v_mul_lo_u32 v5, v1, s14
	v_mul_lo_u32 v4, v2, s13
	;; [unrolled: 1-line block ×3, first 2 shown]
	s_waitcnt lgkmcnt(0)
	v_mov_b32_e32 v0, s20
	v_mov_b32_e32 v1, s21
	v_mad_u64_u32 v[10:11], s[4:5], v2, s12, v[0:1]
	v_ashrrev_i32_e32 v0, 31, v5
	v_mov_b32_e32 v1, s23
	v_add_co_u32_e32 v14, vcc, s22, v5
	s_mul_i32 s4, s16, s6
	v_add3_u32 v11, v3, v11, v4
	v_addc_co_u32_e32 v15, vcc, v1, v0, vcc
	s_lshl_b32 s12, s4, 4
	s_mov_b64 s[4:5], 0
.LBB4_5:                                ; =>This Loop Header: Depth=1
                                        ;     Child Loop BB4_6 Depth 2
                                        ;     Child Loop BB4_8 Depth 2
	v_add_co_u32_e32 v0, vcc, v14, v8
	v_addc_co_u32_e32 v1, vcc, v15, v9, vcc
	v_add_co_u32_e32 v12, vcc, v10, v8
	v_addc_co_u32_e32 v13, vcc, v11, v9, vcc
	global_load_dwordx4 v[0:3], v[0:1], off
	s_mov_b64 s[6:7], 0
	global_load_dwordx2 v[6:7], v[12:13], off
.LBB4_6:                                ;   Parent Loop BB4_5 Depth=1
                                        ; =>  This Inner Loop Header: Depth=2
	s_waitcnt vmcnt(0)
	v_add_f64 v[4:5], v[6:7], v[0:1]
	global_atomic_cmpswap_x2 v[4:5], v[12:13], v[4:7], off glc
	s_waitcnt vmcnt(0)
	v_cmp_eq_u64_e32 vcc, v[4:5], v[6:7]
	v_mov_b32_e32 v7, v5
	s_or_b64 s[6:7], vcc, s[6:7]
	v_mov_b32_e32 v6, v4
	s_andn2_b64 exec, exec, s[6:7]
	s_cbranch_execnz .LBB4_6
; %bb.7:                                ;   in Loop: Header=BB4_5 Depth=1
	s_or_b64 exec, exec, s[6:7]
	global_load_dwordx2 v[6:7], v[12:13], off offset:8
	s_mov_b64 s[6:7], 0
.LBB4_8:                                ;   Parent Loop BB4_5 Depth=1
                                        ; =>  This Inner Loop Header: Depth=2
	s_waitcnt vmcnt(0)
	v_add_f64 v[4:5], v[6:7], v[2:3]
	global_atomic_cmpswap_x2 v[0:1], v[12:13], v[4:7], off offset:8 glc
	s_waitcnt vmcnt(0)
	v_cmp_eq_u64_e32 vcc, v[0:1], v[6:7]
	v_mov_b32_e32 v7, v1
	s_or_b64 s[6:7], vcc, s[6:7]
	v_mov_b32_e32 v6, v0
	s_andn2_b64 exec, exec, s[6:7]
	s_cbranch_execnz .LBB4_8
; %bb.9:                                ;   in Loop: Header=BB4_5 Depth=1
	s_or_b64 exec, exec, s[6:7]
	v_add_u32_e32 v8, s12, v8
	v_ashrrev_i32_e32 v9, 31, v8
	v_cmp_le_i64_e32 vcc, s[8:9], v[8:9]
	s_or_b64 s[4:5], vcc, s[4:5]
	s_andn2_b64 exec, exec, s[4:5]
	s_cbranch_execnz .LBB4_5
.LBB4_10:
	s_or_b64 exec, exec, s[10:11]
	s_orn2_b64 s[2:3], s[2:3], exec
.LBB4_11:
	s_or_b64 exec, exec, s[0:1]
	s_and_b64 exec, exec, s[2:3]
	s_cbranch_execnz .LBB4_13
.LBB4_12:
	s_endpgm
.LBB4_13:
	s_trap 2
	; divergent unreachable
	s_endpgm
	.section	.rodata,"a",@progbits
	.p2align	6, 0x0
	.amdhsa_kernel _ZN2at6native29vectorized_scatter_add_kernelILi16EdlEEvPT0_PKS2_PKT1_illllii
		.amdhsa_group_segment_fixed_size 0
		.amdhsa_private_segment_fixed_size 0
		.amdhsa_kernarg_size 328
		.amdhsa_user_sgpr_count 6
		.amdhsa_user_sgpr_private_segment_buffer 1
		.amdhsa_user_sgpr_dispatch_ptr 0
		.amdhsa_user_sgpr_queue_ptr 0
		.amdhsa_user_sgpr_kernarg_segment_ptr 1
		.amdhsa_user_sgpr_dispatch_id 0
		.amdhsa_user_sgpr_flat_scratch_init 0
		.amdhsa_user_sgpr_private_segment_size 0
		.amdhsa_uses_dynamic_stack 0
		.amdhsa_system_sgpr_private_segment_wavefront_offset 0
		.amdhsa_system_sgpr_workgroup_id_x 1
		.amdhsa_system_sgpr_workgroup_id_y 1
		.amdhsa_system_sgpr_workgroup_id_z 0
		.amdhsa_system_sgpr_workgroup_info 0
		.amdhsa_system_vgpr_workitem_id 0
		.amdhsa_next_free_vgpr 16
		.amdhsa_next_free_sgpr 24
		.amdhsa_reserve_vcc 1
		.amdhsa_reserve_flat_scratch 0
		.amdhsa_float_round_mode_32 0
		.amdhsa_float_round_mode_16_64 0
		.amdhsa_float_denorm_mode_32 3
		.amdhsa_float_denorm_mode_16_64 3
		.amdhsa_dx10_clamp 1
		.amdhsa_ieee_mode 1
		.amdhsa_fp16_overflow 0
		.amdhsa_exception_fp_ieee_invalid_op 0
		.amdhsa_exception_fp_denorm_src 0
		.amdhsa_exception_fp_ieee_div_zero 0
		.amdhsa_exception_fp_ieee_overflow 0
		.amdhsa_exception_fp_ieee_underflow 0
		.amdhsa_exception_fp_ieee_inexact 0
		.amdhsa_exception_int_div_zero 0
	.end_amdhsa_kernel
	.section	.text._ZN2at6native29vectorized_scatter_add_kernelILi16EdlEEvPT0_PKS2_PKT1_illllii,"axG",@progbits,_ZN2at6native29vectorized_scatter_add_kernelILi16EdlEEvPT0_PKS2_PKT1_illllii,comdat
.Lfunc_end4:
	.size	_ZN2at6native29vectorized_scatter_add_kernelILi16EdlEEvPT0_PKS2_PKT1_illllii, .Lfunc_end4-_ZN2at6native29vectorized_scatter_add_kernelILi16EdlEEvPT0_PKS2_PKT1_illllii
                                        ; -- End function
	.set _ZN2at6native29vectorized_scatter_add_kernelILi16EdlEEvPT0_PKS2_PKT1_illllii.num_vgpr, 16
	.set _ZN2at6native29vectorized_scatter_add_kernelILi16EdlEEvPT0_PKS2_PKT1_illllii.num_agpr, 0
	.set _ZN2at6native29vectorized_scatter_add_kernelILi16EdlEEvPT0_PKS2_PKT1_illllii.numbered_sgpr, 24
	.set _ZN2at6native29vectorized_scatter_add_kernelILi16EdlEEvPT0_PKS2_PKT1_illllii.num_named_barrier, 0
	.set _ZN2at6native29vectorized_scatter_add_kernelILi16EdlEEvPT0_PKS2_PKT1_illllii.private_seg_size, 0
	.set _ZN2at6native29vectorized_scatter_add_kernelILi16EdlEEvPT0_PKS2_PKT1_illllii.uses_vcc, 1
	.set _ZN2at6native29vectorized_scatter_add_kernelILi16EdlEEvPT0_PKS2_PKT1_illllii.uses_flat_scratch, 0
	.set _ZN2at6native29vectorized_scatter_add_kernelILi16EdlEEvPT0_PKS2_PKT1_illllii.has_dyn_sized_stack, 0
	.set _ZN2at6native29vectorized_scatter_add_kernelILi16EdlEEvPT0_PKS2_PKT1_illllii.has_recursion, 0
	.set _ZN2at6native29vectorized_scatter_add_kernelILi16EdlEEvPT0_PKS2_PKT1_illllii.has_indirect_call, 0
	.section	.AMDGPU.csdata,"",@progbits
; Kernel info:
; codeLenInByte = 604
; TotalNumSgprs: 28
; NumVgprs: 16
; ScratchSize: 0
; MemoryBound: 0
; FloatMode: 240
; IeeeMode: 1
; LDSByteSize: 0 bytes/workgroup (compile time only)
; SGPRBlocks: 3
; VGPRBlocks: 3
; NumSGPRsForWavesPerEU: 28
; NumVGPRsForWavesPerEU: 16
; Occupancy: 10
; WaveLimiterHint : 1
; COMPUTE_PGM_RSRC2:SCRATCH_EN: 0
; COMPUTE_PGM_RSRC2:USER_SGPR: 6
; COMPUTE_PGM_RSRC2:TRAP_HANDLER: 0
; COMPUTE_PGM_RSRC2:TGID_X_EN: 1
; COMPUTE_PGM_RSRC2:TGID_Y_EN: 1
; COMPUTE_PGM_RSRC2:TGID_Z_EN: 0
; COMPUTE_PGM_RSRC2:TIDIG_COMP_CNT: 0
	.section	.text._ZN2at6native29vectorized_scatter_add_kernelILi16EdiEEvPT0_PKS2_PKT1_illllii,"axG",@progbits,_ZN2at6native29vectorized_scatter_add_kernelILi16EdiEEvPT0_PKS2_PKT1_illllii,comdat
	.protected	_ZN2at6native29vectorized_scatter_add_kernelILi16EdiEEvPT0_PKS2_PKT1_illllii ; -- Begin function _ZN2at6native29vectorized_scatter_add_kernelILi16EdiEEvPT0_PKS2_PKT1_illllii
	.globl	_ZN2at6native29vectorized_scatter_add_kernelILi16EdiEEvPT0_PKS2_PKT1_illllii
	.p2align	8
	.type	_ZN2at6native29vectorized_scatter_add_kernelILi16EdiEEvPT0_PKS2_PKT1_illllii,@function
_ZN2at6native29vectorized_scatter_add_kernelILi16EdiEEvPT0_PKS2_PKT1_illllii: ; @_ZN2at6native29vectorized_scatter_add_kernelILi16EdiEEvPT0_PKS2_PKT1_illllii
; %bb.0:
	s_load_dwordx2 s[16:17], s[4:5], 0x40
	s_waitcnt lgkmcnt(0)
	v_cvt_f32_u32_e32 v1, s16
	s_sub_i32 s0, 0, s16
	s_mul_i32 s1, s17, s6
	v_rcp_iflag_f32_e32 v1, v1
	v_mul_f32_e32 v1, 0x4f7ffffe, v1
	v_cvt_u32_f32_e32 v1, v1
	v_mul_lo_u32 v2, s0, v1
	s_load_dword s0, s[4:5], 0x18
	v_mul_hi_u32 v2, v1, v2
	v_add_u32_e32 v1, v1, v2
	v_mul_hi_u32 v1, v0, v1
	v_mul_lo_u32 v2, v1, s16
	v_add_u32_e32 v3, 1, v1
	v_sub_u32_e32 v2, v0, v2
	v_cmp_le_u32_e32 vcc, s16, v2
	v_cndmask_b32_e32 v1, v1, v3, vcc
	v_subrev_u32_e32 v3, s16, v2
	v_cndmask_b32_e32 v2, v2, v3, vcc
	v_add_u32_e32 v3, 1, v1
	v_cmp_le_u32_e32 vcc, s16, v2
	v_cndmask_b32_e32 v4, v1, v3, vcc
	v_add_u32_e32 v1, s1, v4
	s_waitcnt lgkmcnt(0)
	v_cmp_gt_i32_e32 vcc, s0, v1
	s_and_saveexec_b64 s[0:1], vcc
	s_cbranch_execz .LBB5_12
; %bb.1:
	s_load_dwordx2 s[0:1], s[4:5], 0x10
	v_ashrrev_i32_e32 v2, 31, v1
	v_lshlrev_b64 v[2:3], 2, v[1:2]
	s_mov_b64 s[2:3], -1
	s_waitcnt lgkmcnt(0)
	v_mov_b32_e32 v5, s1
	v_add_co_u32_e32 v2, vcc, s0, v2
	v_addc_co_u32_e32 v3, vcc, v5, v3, vcc
	global_load_dword v2, v[2:3], off
	s_waitcnt vmcnt(0)
	v_cmp_lt_i32_e32 vcc, -1, v2
	s_and_saveexec_b64 s[0:1], vcc
	s_cbranch_execz .LBB5_11
; %bb.2:
	s_load_dwordx8 s[8:15], s[4:5], 0x20
	v_ashrrev_i32_e32 v3, 31, v2
	s_getpc_b64 s[2:3]
	s_add_u32 s2, s2, .str.1@rel32@lo+4
	s_addc_u32 s3, s3, .str.1@rel32@hi+12
	s_cmp_eq_u64 s[2:3], 0
	s_cselect_b64 s[2:3], -1, 0
	s_waitcnt lgkmcnt(0)
	v_cmp_le_i64_e32 vcc, s[10:11], v[2:3]
	s_or_b64 s[2:3], vcc, s[2:3]
	s_xor_b64 s[18:19], s[2:3], -1
	s_and_saveexec_b64 s[10:11], s[18:19]
	s_cbranch_execz .LBB5_10
; %bb.3:
	v_sub_u32_e32 v4, s7, v4
	v_mul_lo_u32 v4, v4, s16
	v_add_lshl_u32 v8, v4, v0, 4
	v_ashrrev_i32_e32 v9, 31, v8
	v_cmp_gt_i64_e32 vcc, s[8:9], v[8:9]
	s_and_b64 exec, exec, vcc
	s_cbranch_execz .LBB5_10
; %bb.4:
	s_load_dwordx4 s[20:23], s[4:5], 0x0
	s_load_dword s6, s[4:5], 0x4c
	v_mul_lo_u32 v5, v1, s14
	v_mul_lo_u32 v3, s12, v3
	;; [unrolled: 1-line block ×3, first 2 shown]
	s_waitcnt lgkmcnt(0)
	v_mov_b32_e32 v0, s20
	v_mov_b32_e32 v1, s21
	v_mad_u64_u32 v[10:11], s[4:5], s12, v2, v[0:1]
	v_ashrrev_i32_e32 v0, 31, v5
	v_mov_b32_e32 v1, s23
	v_add_co_u32_e32 v14, vcc, s22, v5
	s_mul_i32 s4, s16, s6
	v_add3_u32 v11, v4, v11, v3
	v_addc_co_u32_e32 v15, vcc, v1, v0, vcc
	s_lshl_b32 s12, s4, 4
	s_mov_b64 s[4:5], 0
.LBB5_5:                                ; =>This Loop Header: Depth=1
                                        ;     Child Loop BB5_6 Depth 2
                                        ;     Child Loop BB5_8 Depth 2
	v_add_co_u32_e32 v0, vcc, v14, v8
	v_addc_co_u32_e32 v1, vcc, v15, v9, vcc
	v_add_co_u32_e32 v12, vcc, v10, v8
	v_addc_co_u32_e32 v13, vcc, v11, v9, vcc
	global_load_dwordx4 v[0:3], v[0:1], off
	s_mov_b64 s[6:7], 0
	global_load_dwordx2 v[6:7], v[12:13], off
.LBB5_6:                                ;   Parent Loop BB5_5 Depth=1
                                        ; =>  This Inner Loop Header: Depth=2
	s_waitcnt vmcnt(0)
	v_add_f64 v[4:5], v[6:7], v[0:1]
	global_atomic_cmpswap_x2 v[4:5], v[12:13], v[4:7], off glc
	s_waitcnt vmcnt(0)
	v_cmp_eq_u64_e32 vcc, v[4:5], v[6:7]
	v_mov_b32_e32 v7, v5
	s_or_b64 s[6:7], vcc, s[6:7]
	v_mov_b32_e32 v6, v4
	s_andn2_b64 exec, exec, s[6:7]
	s_cbranch_execnz .LBB5_6
; %bb.7:                                ;   in Loop: Header=BB5_5 Depth=1
	s_or_b64 exec, exec, s[6:7]
	global_load_dwordx2 v[6:7], v[12:13], off offset:8
	s_mov_b64 s[6:7], 0
.LBB5_8:                                ;   Parent Loop BB5_5 Depth=1
                                        ; =>  This Inner Loop Header: Depth=2
	s_waitcnt vmcnt(0)
	v_add_f64 v[4:5], v[6:7], v[2:3]
	global_atomic_cmpswap_x2 v[0:1], v[12:13], v[4:7], off offset:8 glc
	s_waitcnt vmcnt(0)
	v_cmp_eq_u64_e32 vcc, v[0:1], v[6:7]
	v_mov_b32_e32 v7, v1
	s_or_b64 s[6:7], vcc, s[6:7]
	v_mov_b32_e32 v6, v0
	s_andn2_b64 exec, exec, s[6:7]
	s_cbranch_execnz .LBB5_8
; %bb.9:                                ;   in Loop: Header=BB5_5 Depth=1
	s_or_b64 exec, exec, s[6:7]
	v_add_u32_e32 v8, s12, v8
	v_ashrrev_i32_e32 v9, 31, v8
	v_cmp_le_i64_e32 vcc, s[8:9], v[8:9]
	s_or_b64 s[4:5], vcc, s[4:5]
	s_andn2_b64 exec, exec, s[4:5]
	s_cbranch_execnz .LBB5_5
.LBB5_10:
	s_or_b64 exec, exec, s[10:11]
	s_orn2_b64 s[2:3], s[2:3], exec
.LBB5_11:
	s_or_b64 exec, exec, s[0:1]
	s_and_b64 exec, exec, s[2:3]
	s_cbranch_execnz .LBB5_13
.LBB5_12:
	s_endpgm
.LBB5_13:
	s_trap 2
	; divergent unreachable
	s_endpgm
	.section	.rodata,"a",@progbits
	.p2align	6, 0x0
	.amdhsa_kernel _ZN2at6native29vectorized_scatter_add_kernelILi16EdiEEvPT0_PKS2_PKT1_illllii
		.amdhsa_group_segment_fixed_size 0
		.amdhsa_private_segment_fixed_size 0
		.amdhsa_kernarg_size 328
		.amdhsa_user_sgpr_count 6
		.amdhsa_user_sgpr_private_segment_buffer 1
		.amdhsa_user_sgpr_dispatch_ptr 0
		.amdhsa_user_sgpr_queue_ptr 0
		.amdhsa_user_sgpr_kernarg_segment_ptr 1
		.amdhsa_user_sgpr_dispatch_id 0
		.amdhsa_user_sgpr_flat_scratch_init 0
		.amdhsa_user_sgpr_private_segment_size 0
		.amdhsa_uses_dynamic_stack 0
		.amdhsa_system_sgpr_private_segment_wavefront_offset 0
		.amdhsa_system_sgpr_workgroup_id_x 1
		.amdhsa_system_sgpr_workgroup_id_y 1
		.amdhsa_system_sgpr_workgroup_id_z 0
		.amdhsa_system_sgpr_workgroup_info 0
		.amdhsa_system_vgpr_workitem_id 0
		.amdhsa_next_free_vgpr 16
		.amdhsa_next_free_sgpr 24
		.amdhsa_reserve_vcc 1
		.amdhsa_reserve_flat_scratch 0
		.amdhsa_float_round_mode_32 0
		.amdhsa_float_round_mode_16_64 0
		.amdhsa_float_denorm_mode_32 3
		.amdhsa_float_denorm_mode_16_64 3
		.amdhsa_dx10_clamp 1
		.amdhsa_ieee_mode 1
		.amdhsa_fp16_overflow 0
		.amdhsa_exception_fp_ieee_invalid_op 0
		.amdhsa_exception_fp_denorm_src 0
		.amdhsa_exception_fp_ieee_div_zero 0
		.amdhsa_exception_fp_ieee_overflow 0
		.amdhsa_exception_fp_ieee_underflow 0
		.amdhsa_exception_fp_ieee_inexact 0
		.amdhsa_exception_int_div_zero 0
	.end_amdhsa_kernel
	.section	.text._ZN2at6native29vectorized_scatter_add_kernelILi16EdiEEvPT0_PKS2_PKT1_illllii,"axG",@progbits,_ZN2at6native29vectorized_scatter_add_kernelILi16EdiEEvPT0_PKS2_PKT1_illllii,comdat
.Lfunc_end5:
	.size	_ZN2at6native29vectorized_scatter_add_kernelILi16EdiEEvPT0_PKS2_PKT1_illllii, .Lfunc_end5-_ZN2at6native29vectorized_scatter_add_kernelILi16EdiEEvPT0_PKS2_PKT1_illllii
                                        ; -- End function
	.set _ZN2at6native29vectorized_scatter_add_kernelILi16EdiEEvPT0_PKS2_PKT1_illllii.num_vgpr, 16
	.set _ZN2at6native29vectorized_scatter_add_kernelILi16EdiEEvPT0_PKS2_PKT1_illllii.num_agpr, 0
	.set _ZN2at6native29vectorized_scatter_add_kernelILi16EdiEEvPT0_PKS2_PKT1_illllii.numbered_sgpr, 24
	.set _ZN2at6native29vectorized_scatter_add_kernelILi16EdiEEvPT0_PKS2_PKT1_illllii.num_named_barrier, 0
	.set _ZN2at6native29vectorized_scatter_add_kernelILi16EdiEEvPT0_PKS2_PKT1_illllii.private_seg_size, 0
	.set _ZN2at6native29vectorized_scatter_add_kernelILi16EdiEEvPT0_PKS2_PKT1_illllii.uses_vcc, 1
	.set _ZN2at6native29vectorized_scatter_add_kernelILi16EdiEEvPT0_PKS2_PKT1_illllii.uses_flat_scratch, 0
	.set _ZN2at6native29vectorized_scatter_add_kernelILi16EdiEEvPT0_PKS2_PKT1_illllii.has_dyn_sized_stack, 0
	.set _ZN2at6native29vectorized_scatter_add_kernelILi16EdiEEvPT0_PKS2_PKT1_illllii.has_recursion, 0
	.set _ZN2at6native29vectorized_scatter_add_kernelILi16EdiEEvPT0_PKS2_PKT1_illllii.has_indirect_call, 0
	.section	.AMDGPU.csdata,"",@progbits
; Kernel info:
; codeLenInByte = 608
; TotalNumSgprs: 28
; NumVgprs: 16
; ScratchSize: 0
; MemoryBound: 0
; FloatMode: 240
; IeeeMode: 1
; LDSByteSize: 0 bytes/workgroup (compile time only)
; SGPRBlocks: 3
; VGPRBlocks: 3
; NumSGPRsForWavesPerEU: 28
; NumVGPRsForWavesPerEU: 16
; Occupancy: 10
; WaveLimiterHint : 1
; COMPUTE_PGM_RSRC2:SCRATCH_EN: 0
; COMPUTE_PGM_RSRC2:USER_SGPR: 6
; COMPUTE_PGM_RSRC2:TRAP_HANDLER: 0
; COMPUTE_PGM_RSRC2:TGID_X_EN: 1
; COMPUTE_PGM_RSRC2:TGID_Y_EN: 1
; COMPUTE_PGM_RSRC2:TGID_Z_EN: 0
; COMPUTE_PGM_RSRC2:TIDIG_COMP_CNT: 0
	.section	.text._ZN2at6native29vectorized_scatter_add_kernelILi16EN3c104HalfElEEvPT0_PKS4_PKT1_illllii,"axG",@progbits,_ZN2at6native29vectorized_scatter_add_kernelILi16EN3c104HalfElEEvPT0_PKS4_PKT1_illllii,comdat
	.protected	_ZN2at6native29vectorized_scatter_add_kernelILi16EN3c104HalfElEEvPT0_PKS4_PKT1_illllii ; -- Begin function _ZN2at6native29vectorized_scatter_add_kernelILi16EN3c104HalfElEEvPT0_PKS4_PKT1_illllii
	.globl	_ZN2at6native29vectorized_scatter_add_kernelILi16EN3c104HalfElEEvPT0_PKS4_PKT1_illllii
	.p2align	8
	.type	_ZN2at6native29vectorized_scatter_add_kernelILi16EN3c104HalfElEEvPT0_PKS4_PKT1_illllii,@function
_ZN2at6native29vectorized_scatter_add_kernelILi16EN3c104HalfElEEvPT0_PKS4_PKT1_illllii: ; @_ZN2at6native29vectorized_scatter_add_kernelILi16EN3c104HalfElEEvPT0_PKS4_PKT1_illllii
; %bb.0:
	s_load_dwordx2 s[0:1], s[4:5], 0x40
	s_waitcnt lgkmcnt(0)
	v_cvt_f32_u32_e32 v1, s0
	s_sub_i32 s2, 0, s0
	s_mul_i32 s1, s1, s6
	v_rcp_iflag_f32_e32 v1, v1
	v_mul_f32_e32 v1, 0x4f7ffffe, v1
	v_cvt_u32_f32_e32 v1, v1
	v_mul_lo_u32 v2, s2, v1
	s_load_dword s2, s[4:5], 0x18
	v_mul_hi_u32 v2, v1, v2
	v_add_u32_e32 v1, v1, v2
	v_mul_hi_u32 v1, v0, v1
	v_mul_lo_u32 v2, v1, s0
	v_add_u32_e32 v3, 1, v1
	v_sub_u32_e32 v2, v0, v2
	v_cmp_le_u32_e32 vcc, s0, v2
	v_cndmask_b32_e32 v1, v1, v3, vcc
	v_subrev_u32_e32 v3, s0, v2
	v_cndmask_b32_e32 v2, v2, v3, vcc
	v_add_u32_e32 v3, 1, v1
	v_cmp_le_u32_e32 vcc, s0, v2
	v_cndmask_b32_e32 v4, v1, v3, vcc
	v_add_u32_e32 v1, s1, v4
	s_waitcnt lgkmcnt(0)
	v_cmp_gt_i32_e32 vcc, s2, v1
	s_and_saveexec_b64 s[2:3], vcc
	s_cbranch_execz .LBB6_56
; %bb.1:
	s_load_dwordx2 s[2:3], s[4:5], 0x10
	v_ashrrev_i32_e32 v2, 31, v1
	v_lshlrev_b64 v[2:3], 3, v[1:2]
	s_waitcnt lgkmcnt(0)
	v_mov_b32_e32 v5, s3
	v_add_co_u32_e32 v2, vcc, s2, v2
	v_addc_co_u32_e32 v3, vcc, v5, v3, vcc
	global_load_dwordx2 v[2:3], v[2:3], off
	s_mov_b64 s[2:3], -1
	s_waitcnt vmcnt(0)
	v_cmp_lt_i64_e32 vcc, -1, v[2:3]
	s_and_saveexec_b64 s[16:17], vcc
	s_cbranch_execz .LBB6_55
; %bb.2:
	s_load_dwordx8 s[8:15], s[4:5], 0x20
	s_getpc_b64 s[2:3]
	s_add_u32 s2, s2, .str.1@rel32@lo+4
	s_addc_u32 s3, s3, .str.1@rel32@hi+12
	s_cmp_eq_u64 s[2:3], 0
	s_cselect_b64 s[2:3], -1, 0
	s_waitcnt lgkmcnt(0)
	v_cmp_le_i64_e32 vcc, s[10:11], v[2:3]
	s_or_b64 s[10:11], vcc, s[2:3]
	s_xor_b64 s[2:3], s[10:11], -1
	s_and_saveexec_b64 s[18:19], s[2:3]
	s_cbranch_execz .LBB6_54
; %bb.3:
	v_sub_u32_e32 v4, s7, v4
	v_mul_lo_u32 v4, v4, s0
	v_add_lshl_u32 v4, v4, v0, 4
	v_ashrrev_i32_e32 v5, 31, v4
	v_cmp_gt_i64_e32 vcc, s[8:9], v[4:5]
	s_and_b64 exec, exec, vcc
	s_cbranch_execz .LBB6_54
; %bb.4:
	s_load_dwordx4 s[20:23], s[4:5], 0x0
	s_load_dword s1, s[4:5], 0x4c
	v_mul_lo_u32 v9, v1, s14
	v_mul_lo_u32 v8, v2, s13
	;; [unrolled: 1-line block ×3, first 2 shown]
	s_waitcnt lgkmcnt(0)
	v_mov_b32_e32 v0, s20
	v_mov_b32_e32 v1, s21
	v_mad_u64_u32 v[6:7], s[2:3], v2, s12, v[0:1]
	v_ashrrev_i32_e32 v0, 31, v9
	v_mov_b32_e32 v1, s23
	v_add_co_u32_e32 v14, vcc, s22, v9
	s_mul_i32 s0, s0, s1
	v_add3_u32 v7, v3, v7, v8
	v_addc_co_u32_e32 v15, vcc, v1, v0, vcc
	s_lshl_b32 s12, s0, 4
	s_mov_b64 s[4:5], 0
	v_mov_b32_e32 v9, 0
	s_mov_b32 s13, 0xffff0000
	s_branch .LBB6_6
.LBB6_5:                                ;   in Loop: Header=BB6_6 Depth=1
	s_or_b64 exec, exec, s[6:7]
	v_add_u32_e32 v4, s12, v4
	v_ashrrev_i32_e32 v5, 31, v4
	v_cmp_le_i64_e32 vcc, s[8:9], v[4:5]
	s_or_b64 s[4:5], vcc, s[4:5]
	s_andn2_b64 exec, exec, s[4:5]
	s_cbranch_execz .LBB6_54
.LBB6_6:                                ; =>This Loop Header: Depth=1
                                        ;     Child Loop BB6_8 Depth 2
                                        ;     Child Loop BB6_14 Depth 2
	;; [unrolled: 1-line block ×8, first 2 shown]
	v_add_co_u32_e32 v0, vcc, v14, v4
	v_addc_co_u32_e32 v1, vcc, v15, v5, vcc
	v_add_co_u32_e32 v16, vcc, v6, v4
	v_addc_co_u32_e32 v5, vcc, v7, v5, vcc
	v_and_b32_e32 v8, 2, v16
	v_sub_co_u32_e32 v10, vcc, 0, v8
	v_subb_co_u32_e64 v11, s[0:1], 0, 0, vcc
	v_add_co_u32_e32 v10, vcc, v16, v10
	v_addc_co_u32_e32 v11, vcc, v5, v11, vcc
	global_load_dwordx4 v[0:3], v[0:1], off
	v_cmp_eq_u64_e32 vcc, 0, v[8:9]
	global_load_dword v13, v[10:11], off
	v_cmp_ne_u32_e64 s[0:1], 0, v8
	s_mov_b64 s[6:7], 0
	s_branch .LBB6_8
.LBB6_7:                                ;   in Loop: Header=BB6_8 Depth=2
	s_or_b64 exec, exec, s[2:3]
	global_atomic_cmpswap v8, v[10:11], v[12:13], off glc
	s_waitcnt vmcnt(0)
	v_cmp_eq_u32_e64 s[2:3], v13, v8
	s_or_b64 s[6:7], s[2:3], s[6:7]
	v_mov_b32_e32 v13, v8
	s_andn2_b64 exec, exec, s[6:7]
	s_cbranch_execz .LBB6_12
.LBB6_8:                                ;   Parent Loop BB6_6 Depth=1
                                        ; =>  This Inner Loop Header: Depth=2
	s_waitcnt vmcnt(0)
	v_cndmask_b32_sdwa v8, v13, v13, vcc dst_sel:DWORD dst_unused:UNUSED_PAD src0_sel:WORD_1 src1_sel:DWORD
	v_add_f16_e32 v8, v0, v8
	s_and_saveexec_b64 s[2:3], s[0:1]
	s_xor_b64 s[2:3], exec, s[2:3]
; %bb.9:                                ;   in Loop: Header=BB6_8 Depth=2
	v_and_b32_e32 v12, 0xffff, v13
	v_lshl_or_b32 v12, v8, 16, v12
                                        ; implicit-def: $vgpr8
; %bb.10:                               ;   in Loop: Header=BB6_8 Depth=2
	s_andn2_saveexec_b64 s[2:3], s[2:3]
	s_cbranch_execz .LBB6_7
; %bb.11:                               ;   in Loop: Header=BB6_8 Depth=2
	v_and_or_b32 v12, v13, s13, v8
	s_branch .LBB6_7
.LBB6_12:                               ;   in Loop: Header=BB6_6 Depth=1
	s_or_b64 exec, exec, s[6:7]
	v_add_u32_e32 v8, 2, v16
	v_and_b32_e32 v8, 2, v8
	v_sub_co_u32_e32 v10, vcc, 0, v8
	v_subb_co_u32_e64 v11, s[0:1], 0, 0, vcc
	v_add_co_u32_e32 v10, vcc, v16, v10
	v_addc_co_u32_e32 v11, vcc, v5, v11, vcc
	global_load_dword v13, v[10:11], off offset:2
	s_mov_b64 s[6:7], 0
	v_cmp_eq_u32_e32 vcc, 0, v8
	v_cmp_ne_u32_e64 s[0:1], 0, v8
	s_branch .LBB6_14
.LBB6_13:                               ;   in Loop: Header=BB6_14 Depth=2
	s_or_b64 exec, exec, s[2:3]
	global_atomic_cmpswap v8, v[10:11], v[12:13], off offset:2 glc
	s_waitcnt vmcnt(0)
	v_cmp_eq_u32_e64 s[2:3], v13, v8
	s_or_b64 s[6:7], s[2:3], s[6:7]
	v_mov_b32_e32 v13, v8
	s_andn2_b64 exec, exec, s[6:7]
	s_cbranch_execz .LBB6_18
.LBB6_14:                               ;   Parent Loop BB6_6 Depth=1
                                        ; =>  This Inner Loop Header: Depth=2
	s_waitcnt vmcnt(0)
	v_cndmask_b32_sdwa v8, v13, v13, vcc dst_sel:DWORD dst_unused:UNUSED_PAD src0_sel:WORD_1 src1_sel:DWORD
	v_add_f16_sdwa v8, v0, v8 dst_sel:DWORD dst_unused:UNUSED_PAD src0_sel:WORD_1 src1_sel:DWORD
	s_and_saveexec_b64 s[2:3], s[0:1]
	s_xor_b64 s[2:3], exec, s[2:3]
; %bb.15:                               ;   in Loop: Header=BB6_14 Depth=2
	v_and_b32_e32 v12, 0xffff, v13
	v_lshl_or_b32 v12, v8, 16, v12
                                        ; implicit-def: $vgpr8
; %bb.16:                               ;   in Loop: Header=BB6_14 Depth=2
	s_andn2_saveexec_b64 s[2:3], s[2:3]
	s_cbranch_execz .LBB6_13
; %bb.17:                               ;   in Loop: Header=BB6_14 Depth=2
	v_and_or_b32 v12, v13, s13, v8
	s_branch .LBB6_13
.LBB6_18:                               ;   in Loop: Header=BB6_6 Depth=1
	s_or_b64 exec, exec, s[6:7]
	v_add_u32_e32 v0, 4, v16
	v_and_b32_e32 v0, 2, v0
	v_sub_co_u32_e32 v8, vcc, 0, v0
	v_subb_co_u32_e64 v11, s[0:1], 0, 0, vcc
	v_add_co_u32_e32 v10, vcc, v16, v8
	v_addc_co_u32_e32 v11, vcc, v5, v11, vcc
	global_load_dword v13, v[10:11], off offset:4
	s_mov_b64 s[6:7], 0
	v_cmp_eq_u32_e32 vcc, 0, v0
	v_cmp_ne_u32_e64 s[0:1], 0, v0
	s_branch .LBB6_20
.LBB6_19:                               ;   in Loop: Header=BB6_20 Depth=2
	s_or_b64 exec, exec, s[2:3]
	global_atomic_cmpswap v0, v[10:11], v[12:13], off offset:4 glc
	s_waitcnt vmcnt(0)
	v_cmp_eq_u32_e64 s[2:3], v13, v0
	s_or_b64 s[6:7], s[2:3], s[6:7]
	v_mov_b32_e32 v13, v0
	s_andn2_b64 exec, exec, s[6:7]
	s_cbranch_execz .LBB6_24
.LBB6_20:                               ;   Parent Loop BB6_6 Depth=1
                                        ; =>  This Inner Loop Header: Depth=2
	s_waitcnt vmcnt(0)
	v_cndmask_b32_sdwa v0, v13, v13, vcc dst_sel:DWORD dst_unused:UNUSED_PAD src0_sel:WORD_1 src1_sel:DWORD
	v_add_f16_e32 v0, v1, v0
	s_and_saveexec_b64 s[2:3], s[0:1]
	s_xor_b64 s[2:3], exec, s[2:3]
; %bb.21:                               ;   in Loop: Header=BB6_20 Depth=2
	v_and_b32_e32 v8, 0xffff, v13
	v_lshl_or_b32 v12, v0, 16, v8
                                        ; implicit-def: $vgpr0
; %bb.22:                               ;   in Loop: Header=BB6_20 Depth=2
	s_andn2_saveexec_b64 s[2:3], s[2:3]
	s_cbranch_execz .LBB6_19
; %bb.23:                               ;   in Loop: Header=BB6_20 Depth=2
	v_and_or_b32 v12, v13, s13, v0
	s_branch .LBB6_19
.LBB6_24:                               ;   in Loop: Header=BB6_6 Depth=1
	s_or_b64 exec, exec, s[6:7]
	v_add_u32_e32 v0, 6, v16
	v_and_b32_e32 v0, 2, v0
	v_sub_co_u32_e32 v8, vcc, 0, v0
	v_subb_co_u32_e64 v11, s[0:1], 0, 0, vcc
	v_add_co_u32_e32 v10, vcc, v16, v8
	v_addc_co_u32_e32 v11, vcc, v5, v11, vcc
	global_load_dword v13, v[10:11], off offset:6
	s_mov_b64 s[6:7], 0
	v_cmp_eq_u32_e32 vcc, 0, v0
	v_cmp_ne_u32_e64 s[0:1], 0, v0
	s_branch .LBB6_26
.LBB6_25:                               ;   in Loop: Header=BB6_26 Depth=2
	s_or_b64 exec, exec, s[2:3]
	global_atomic_cmpswap v0, v[10:11], v[12:13], off offset:6 glc
	s_waitcnt vmcnt(0)
	v_cmp_eq_u32_e64 s[2:3], v13, v0
	s_or_b64 s[6:7], s[2:3], s[6:7]
	v_mov_b32_e32 v13, v0
	s_andn2_b64 exec, exec, s[6:7]
	s_cbranch_execz .LBB6_30
.LBB6_26:                               ;   Parent Loop BB6_6 Depth=1
                                        ; =>  This Inner Loop Header: Depth=2
	s_waitcnt vmcnt(0)
	v_cndmask_b32_sdwa v0, v13, v13, vcc dst_sel:DWORD dst_unused:UNUSED_PAD src0_sel:WORD_1 src1_sel:DWORD
	v_add_f16_sdwa v0, v1, v0 dst_sel:DWORD dst_unused:UNUSED_PAD src0_sel:WORD_1 src1_sel:DWORD
	s_and_saveexec_b64 s[2:3], s[0:1]
	s_xor_b64 s[2:3], exec, s[2:3]
; %bb.27:                               ;   in Loop: Header=BB6_26 Depth=2
	v_and_b32_e32 v8, 0xffff, v13
	v_lshl_or_b32 v12, v0, 16, v8
                                        ; implicit-def: $vgpr0
; %bb.28:                               ;   in Loop: Header=BB6_26 Depth=2
	s_andn2_saveexec_b64 s[2:3], s[2:3]
	s_cbranch_execz .LBB6_25
; %bb.29:                               ;   in Loop: Header=BB6_26 Depth=2
	v_and_or_b32 v12, v13, s13, v0
	s_branch .LBB6_25
.LBB6_30:                               ;   in Loop: Header=BB6_6 Depth=1
	s_or_b64 exec, exec, s[6:7]
	v_add_u32_e32 v0, 8, v16
	v_and_b32_e32 v8, 2, v0
	v_sub_co_u32_e32 v0, vcc, 0, v8
	v_subb_co_u32_e64 v1, s[0:1], 0, 0, vcc
	v_add_co_u32_e32 v0, vcc, v16, v0
	v_addc_co_u32_e32 v1, vcc, v5, v1, vcc
	global_load_dword v11, v[0:1], off offset:8
	s_mov_b64 s[6:7], 0
	v_cmp_eq_u32_e32 vcc, 0, v8
	v_cmp_ne_u32_e64 s[0:1], 0, v8
	s_branch .LBB6_32
.LBB6_31:                               ;   in Loop: Header=BB6_32 Depth=2
	s_or_b64 exec, exec, s[2:3]
	global_atomic_cmpswap v8, v[0:1], v[10:11], off offset:8 glc
	s_waitcnt vmcnt(0)
	v_cmp_eq_u32_e64 s[2:3], v11, v8
	s_or_b64 s[6:7], s[2:3], s[6:7]
	v_mov_b32_e32 v11, v8
	s_andn2_b64 exec, exec, s[6:7]
	s_cbranch_execz .LBB6_36
.LBB6_32:                               ;   Parent Loop BB6_6 Depth=1
                                        ; =>  This Inner Loop Header: Depth=2
	s_waitcnt vmcnt(0)
	v_cndmask_b32_sdwa v8, v11, v11, vcc dst_sel:DWORD dst_unused:UNUSED_PAD src0_sel:WORD_1 src1_sel:DWORD
	v_add_f16_e32 v8, v2, v8
	s_and_saveexec_b64 s[2:3], s[0:1]
	s_xor_b64 s[2:3], exec, s[2:3]
; %bb.33:                               ;   in Loop: Header=BB6_32 Depth=2
	v_and_b32_e32 v10, 0xffff, v11
	v_lshl_or_b32 v10, v8, 16, v10
                                        ; implicit-def: $vgpr8
; %bb.34:                               ;   in Loop: Header=BB6_32 Depth=2
	s_andn2_saveexec_b64 s[2:3], s[2:3]
	s_cbranch_execz .LBB6_31
; %bb.35:                               ;   in Loop: Header=BB6_32 Depth=2
	v_and_or_b32 v10, v11, s13, v8
	s_branch .LBB6_31
.LBB6_36:                               ;   in Loop: Header=BB6_6 Depth=1
	s_or_b64 exec, exec, s[6:7]
	v_add_u32_e32 v0, 10, v16
	v_and_b32_e32 v8, 2, v0
	v_sub_co_u32_e32 v0, vcc, 0, v8
	v_subb_co_u32_e64 v1, s[0:1], 0, 0, vcc
	v_add_co_u32_e32 v0, vcc, v16, v0
	v_addc_co_u32_e32 v1, vcc, v5, v1, vcc
	global_load_dword v11, v[0:1], off offset:10
	s_mov_b64 s[6:7], 0
	v_cmp_eq_u32_e32 vcc, 0, v8
	v_cmp_ne_u32_e64 s[0:1], 0, v8
	s_branch .LBB6_38
.LBB6_37:                               ;   in Loop: Header=BB6_38 Depth=2
	s_or_b64 exec, exec, s[2:3]
	global_atomic_cmpswap v8, v[0:1], v[10:11], off offset:10 glc
	s_waitcnt vmcnt(0)
	v_cmp_eq_u32_e64 s[2:3], v11, v8
	s_or_b64 s[6:7], s[2:3], s[6:7]
	v_mov_b32_e32 v11, v8
	s_andn2_b64 exec, exec, s[6:7]
	s_cbranch_execz .LBB6_42
.LBB6_38:                               ;   Parent Loop BB6_6 Depth=1
                                        ; =>  This Inner Loop Header: Depth=2
	s_waitcnt vmcnt(0)
	v_cndmask_b32_sdwa v8, v11, v11, vcc dst_sel:DWORD dst_unused:UNUSED_PAD src0_sel:WORD_1 src1_sel:DWORD
	v_add_f16_sdwa v8, v2, v8 dst_sel:DWORD dst_unused:UNUSED_PAD src0_sel:WORD_1 src1_sel:DWORD
	s_and_saveexec_b64 s[2:3], s[0:1]
	s_xor_b64 s[2:3], exec, s[2:3]
; %bb.39:                               ;   in Loop: Header=BB6_38 Depth=2
	v_and_b32_e32 v10, 0xffff, v11
	v_lshl_or_b32 v10, v8, 16, v10
                                        ; implicit-def: $vgpr8
; %bb.40:                               ;   in Loop: Header=BB6_38 Depth=2
	s_andn2_saveexec_b64 s[2:3], s[2:3]
	s_cbranch_execz .LBB6_37
; %bb.41:                               ;   in Loop: Header=BB6_38 Depth=2
	v_and_or_b32 v10, v11, s13, v8
	s_branch .LBB6_37
.LBB6_42:                               ;   in Loop: Header=BB6_6 Depth=1
	s_or_b64 exec, exec, s[6:7]
	v_add_u32_e32 v0, 12, v16
	v_and_b32_e32 v2, 2, v0
	v_sub_co_u32_e32 v0, vcc, 0, v2
	v_subb_co_u32_e64 v1, s[0:1], 0, 0, vcc
	v_add_co_u32_e32 v0, vcc, v16, v0
	v_addc_co_u32_e32 v1, vcc, v5, v1, vcc
	global_load_dword v11, v[0:1], off offset:12
	s_mov_b64 s[6:7], 0
	v_cmp_eq_u32_e32 vcc, 0, v2
	v_cmp_ne_u32_e64 s[0:1], 0, v2
	s_branch .LBB6_44
.LBB6_43:                               ;   in Loop: Header=BB6_44 Depth=2
	s_or_b64 exec, exec, s[2:3]
	global_atomic_cmpswap v2, v[0:1], v[10:11], off offset:12 glc
	s_waitcnt vmcnt(0)
	v_cmp_eq_u32_e64 s[2:3], v11, v2
	s_or_b64 s[6:7], s[2:3], s[6:7]
	v_mov_b32_e32 v11, v2
	s_andn2_b64 exec, exec, s[6:7]
	s_cbranch_execz .LBB6_48
.LBB6_44:                               ;   Parent Loop BB6_6 Depth=1
                                        ; =>  This Inner Loop Header: Depth=2
	s_waitcnt vmcnt(0)
	v_cndmask_b32_sdwa v2, v11, v11, vcc dst_sel:DWORD dst_unused:UNUSED_PAD src0_sel:WORD_1 src1_sel:DWORD
	v_add_f16_e32 v2, v3, v2
	s_and_saveexec_b64 s[2:3], s[0:1]
	s_xor_b64 s[2:3], exec, s[2:3]
; %bb.45:                               ;   in Loop: Header=BB6_44 Depth=2
	v_and_b32_e32 v8, 0xffff, v11
	v_lshl_or_b32 v10, v2, 16, v8
                                        ; implicit-def: $vgpr2
; %bb.46:                               ;   in Loop: Header=BB6_44 Depth=2
	s_andn2_saveexec_b64 s[2:3], s[2:3]
	s_cbranch_execz .LBB6_43
; %bb.47:                               ;   in Loop: Header=BB6_44 Depth=2
	v_and_or_b32 v10, v11, s13, v2
	s_branch .LBB6_43
.LBB6_48:                               ;   in Loop: Header=BB6_6 Depth=1
	s_or_b64 exec, exec, s[6:7]
	v_add_u32_e32 v0, 14, v16
	v_and_b32_e32 v2, 2, v0
	v_sub_co_u32_e32 v0, vcc, 0, v2
	v_subb_co_u32_e64 v1, s[0:1], 0, 0, vcc
	v_add_co_u32_e32 v0, vcc, v16, v0
	v_addc_co_u32_e32 v1, vcc, v5, v1, vcc
	global_load_dword v11, v[0:1], off offset:14
	s_mov_b64 s[6:7], 0
	v_cmp_eq_u32_e32 vcc, 0, v2
	v_cmp_ne_u32_e64 s[0:1], 0, v2
	s_branch .LBB6_50
.LBB6_49:                               ;   in Loop: Header=BB6_50 Depth=2
	s_or_b64 exec, exec, s[2:3]
	global_atomic_cmpswap v2, v[0:1], v[10:11], off offset:14 glc
	s_waitcnt vmcnt(0)
	v_cmp_eq_u32_e64 s[2:3], v11, v2
	s_or_b64 s[6:7], s[2:3], s[6:7]
	v_mov_b32_e32 v11, v2
	s_andn2_b64 exec, exec, s[6:7]
	s_cbranch_execz .LBB6_5
.LBB6_50:                               ;   Parent Loop BB6_6 Depth=1
                                        ; =>  This Inner Loop Header: Depth=2
	s_waitcnt vmcnt(0)
	v_cndmask_b32_sdwa v2, v11, v11, vcc dst_sel:DWORD dst_unused:UNUSED_PAD src0_sel:WORD_1 src1_sel:DWORD
	v_add_f16_sdwa v2, v3, v2 dst_sel:DWORD dst_unused:UNUSED_PAD src0_sel:WORD_1 src1_sel:DWORD
	s_and_saveexec_b64 s[2:3], s[0:1]
	s_xor_b64 s[2:3], exec, s[2:3]
; %bb.51:                               ;   in Loop: Header=BB6_50 Depth=2
	v_and_b32_e32 v5, 0xffff, v11
	v_lshl_or_b32 v10, v2, 16, v5
                                        ; implicit-def: $vgpr2
; %bb.52:                               ;   in Loop: Header=BB6_50 Depth=2
	s_andn2_saveexec_b64 s[2:3], s[2:3]
	s_cbranch_execz .LBB6_49
; %bb.53:                               ;   in Loop: Header=BB6_50 Depth=2
	v_and_or_b32 v10, v11, s13, v2
	s_branch .LBB6_49
.LBB6_54:
	s_or_b64 exec, exec, s[18:19]
	s_orn2_b64 s[2:3], s[10:11], exec
.LBB6_55:
	s_or_b64 exec, exec, s[16:17]
	s_and_b64 exec, exec, s[2:3]
	s_cbranch_execnz .LBB6_57
.LBB6_56:
	s_endpgm
.LBB6_57:
	s_trap 2
	; divergent unreachable
	s_endpgm
	.section	.rodata,"a",@progbits
	.p2align	6, 0x0
	.amdhsa_kernel _ZN2at6native29vectorized_scatter_add_kernelILi16EN3c104HalfElEEvPT0_PKS4_PKT1_illllii
		.amdhsa_group_segment_fixed_size 0
		.amdhsa_private_segment_fixed_size 0
		.amdhsa_kernarg_size 328
		.amdhsa_user_sgpr_count 6
		.amdhsa_user_sgpr_private_segment_buffer 1
		.amdhsa_user_sgpr_dispatch_ptr 0
		.amdhsa_user_sgpr_queue_ptr 0
		.amdhsa_user_sgpr_kernarg_segment_ptr 1
		.amdhsa_user_sgpr_dispatch_id 0
		.amdhsa_user_sgpr_flat_scratch_init 0
		.amdhsa_user_sgpr_private_segment_size 0
		.amdhsa_uses_dynamic_stack 0
		.amdhsa_system_sgpr_private_segment_wavefront_offset 0
		.amdhsa_system_sgpr_workgroup_id_x 1
		.amdhsa_system_sgpr_workgroup_id_y 1
		.amdhsa_system_sgpr_workgroup_id_z 0
		.amdhsa_system_sgpr_workgroup_info 0
		.amdhsa_system_vgpr_workitem_id 0
		.amdhsa_next_free_vgpr 17
		.amdhsa_next_free_sgpr 24
		.amdhsa_reserve_vcc 1
		.amdhsa_reserve_flat_scratch 0
		.amdhsa_float_round_mode_32 0
		.amdhsa_float_round_mode_16_64 0
		.amdhsa_float_denorm_mode_32 3
		.amdhsa_float_denorm_mode_16_64 3
		.amdhsa_dx10_clamp 1
		.amdhsa_ieee_mode 1
		.amdhsa_fp16_overflow 0
		.amdhsa_exception_fp_ieee_invalid_op 0
		.amdhsa_exception_fp_denorm_src 0
		.amdhsa_exception_fp_ieee_div_zero 0
		.amdhsa_exception_fp_ieee_overflow 0
		.amdhsa_exception_fp_ieee_underflow 0
		.amdhsa_exception_fp_ieee_inexact 0
		.amdhsa_exception_int_div_zero 0
	.end_amdhsa_kernel
	.section	.text._ZN2at6native29vectorized_scatter_add_kernelILi16EN3c104HalfElEEvPT0_PKS4_PKT1_illllii,"axG",@progbits,_ZN2at6native29vectorized_scatter_add_kernelILi16EN3c104HalfElEEvPT0_PKS4_PKT1_illllii,comdat
.Lfunc_end6:
	.size	_ZN2at6native29vectorized_scatter_add_kernelILi16EN3c104HalfElEEvPT0_PKS4_PKT1_illllii, .Lfunc_end6-_ZN2at6native29vectorized_scatter_add_kernelILi16EN3c104HalfElEEvPT0_PKS4_PKT1_illllii
                                        ; -- End function
	.set _ZN2at6native29vectorized_scatter_add_kernelILi16EN3c104HalfElEEvPT0_PKS4_PKT1_illllii.num_vgpr, 17
	.set _ZN2at6native29vectorized_scatter_add_kernelILi16EN3c104HalfElEEvPT0_PKS4_PKT1_illllii.num_agpr, 0
	.set _ZN2at6native29vectorized_scatter_add_kernelILi16EN3c104HalfElEEvPT0_PKS4_PKT1_illllii.numbered_sgpr, 24
	.set _ZN2at6native29vectorized_scatter_add_kernelILi16EN3c104HalfElEEvPT0_PKS4_PKT1_illllii.num_named_barrier, 0
	.set _ZN2at6native29vectorized_scatter_add_kernelILi16EN3c104HalfElEEvPT0_PKS4_PKT1_illllii.private_seg_size, 0
	.set _ZN2at6native29vectorized_scatter_add_kernelILi16EN3c104HalfElEEvPT0_PKS4_PKT1_illllii.uses_vcc, 1
	.set _ZN2at6native29vectorized_scatter_add_kernelILi16EN3c104HalfElEEvPT0_PKS4_PKT1_illllii.uses_flat_scratch, 0
	.set _ZN2at6native29vectorized_scatter_add_kernelILi16EN3c104HalfElEEvPT0_PKS4_PKT1_illllii.has_dyn_sized_stack, 0
	.set _ZN2at6native29vectorized_scatter_add_kernelILi16EN3c104HalfElEEvPT0_PKS4_PKT1_illllii.has_recursion, 0
	.set _ZN2at6native29vectorized_scatter_add_kernelILi16EN3c104HalfElEEvPT0_PKS4_PKT1_illllii.has_indirect_call, 0
	.section	.AMDGPU.csdata,"",@progbits
; Kernel info:
; codeLenInByte = 1784
; TotalNumSgprs: 28
; NumVgprs: 17
; ScratchSize: 0
; MemoryBound: 0
; FloatMode: 240
; IeeeMode: 1
; LDSByteSize: 0 bytes/workgroup (compile time only)
; SGPRBlocks: 3
; VGPRBlocks: 4
; NumSGPRsForWavesPerEU: 28
; NumVGPRsForWavesPerEU: 17
; Occupancy: 10
; WaveLimiterHint : 1
; COMPUTE_PGM_RSRC2:SCRATCH_EN: 0
; COMPUTE_PGM_RSRC2:USER_SGPR: 6
; COMPUTE_PGM_RSRC2:TRAP_HANDLER: 0
; COMPUTE_PGM_RSRC2:TGID_X_EN: 1
; COMPUTE_PGM_RSRC2:TGID_Y_EN: 1
; COMPUTE_PGM_RSRC2:TGID_Z_EN: 0
; COMPUTE_PGM_RSRC2:TIDIG_COMP_CNT: 0
	.section	.text._ZN2at6native29vectorized_scatter_add_kernelILi16EN3c104HalfEiEEvPT0_PKS4_PKT1_illllii,"axG",@progbits,_ZN2at6native29vectorized_scatter_add_kernelILi16EN3c104HalfEiEEvPT0_PKS4_PKT1_illllii,comdat
	.protected	_ZN2at6native29vectorized_scatter_add_kernelILi16EN3c104HalfEiEEvPT0_PKS4_PKT1_illllii ; -- Begin function _ZN2at6native29vectorized_scatter_add_kernelILi16EN3c104HalfEiEEvPT0_PKS4_PKT1_illllii
	.globl	_ZN2at6native29vectorized_scatter_add_kernelILi16EN3c104HalfEiEEvPT0_PKS4_PKT1_illllii
	.p2align	8
	.type	_ZN2at6native29vectorized_scatter_add_kernelILi16EN3c104HalfEiEEvPT0_PKS4_PKT1_illllii,@function
_ZN2at6native29vectorized_scatter_add_kernelILi16EN3c104HalfEiEEvPT0_PKS4_PKT1_illllii: ; @_ZN2at6native29vectorized_scatter_add_kernelILi16EN3c104HalfEiEEvPT0_PKS4_PKT1_illllii
; %bb.0:
	s_load_dwordx2 s[0:1], s[4:5], 0x40
	s_waitcnt lgkmcnt(0)
	v_cvt_f32_u32_e32 v1, s0
	s_sub_i32 s2, 0, s0
	s_mul_i32 s1, s1, s6
	v_rcp_iflag_f32_e32 v1, v1
	v_mul_f32_e32 v1, 0x4f7ffffe, v1
	v_cvt_u32_f32_e32 v1, v1
	v_mul_lo_u32 v2, s2, v1
	s_load_dword s2, s[4:5], 0x18
	v_mul_hi_u32 v2, v1, v2
	v_add_u32_e32 v1, v1, v2
	v_mul_hi_u32 v1, v0, v1
	v_mul_lo_u32 v2, v1, s0
	v_add_u32_e32 v3, 1, v1
	v_sub_u32_e32 v2, v0, v2
	v_cmp_le_u32_e32 vcc, s0, v2
	v_cndmask_b32_e32 v1, v1, v3, vcc
	v_subrev_u32_e32 v3, s0, v2
	v_cndmask_b32_e32 v2, v2, v3, vcc
	v_add_u32_e32 v3, 1, v1
	v_cmp_le_u32_e32 vcc, s0, v2
	v_cndmask_b32_e32 v4, v1, v3, vcc
	v_add_u32_e32 v1, s1, v4
	s_waitcnt lgkmcnt(0)
	v_cmp_gt_i32_e32 vcc, s2, v1
	s_and_saveexec_b64 s[2:3], vcc
	s_cbranch_execz .LBB7_56
; %bb.1:
	s_load_dwordx2 s[2:3], s[4:5], 0x10
	v_ashrrev_i32_e32 v2, 31, v1
	v_lshlrev_b64 v[2:3], 2, v[1:2]
	s_waitcnt lgkmcnt(0)
	v_mov_b32_e32 v5, s3
	v_add_co_u32_e32 v2, vcc, s2, v2
	v_addc_co_u32_e32 v3, vcc, v5, v3, vcc
	global_load_dword v2, v[2:3], off
	s_mov_b64 s[2:3], -1
	s_waitcnt vmcnt(0)
	v_cmp_lt_i32_e32 vcc, -1, v2
	s_and_saveexec_b64 s[16:17], vcc
	s_cbranch_execz .LBB7_55
; %bb.2:
	s_load_dwordx8 s[8:15], s[4:5], 0x20
	v_ashrrev_i32_e32 v3, 31, v2
	s_getpc_b64 s[2:3]
	s_add_u32 s2, s2, .str.1@rel32@lo+4
	s_addc_u32 s3, s3, .str.1@rel32@hi+12
	s_cmp_eq_u64 s[2:3], 0
	s_cselect_b64 s[2:3], -1, 0
	s_waitcnt lgkmcnt(0)
	v_cmp_le_i64_e32 vcc, s[10:11], v[2:3]
	s_or_b64 s[10:11], vcc, s[2:3]
	s_xor_b64 s[2:3], s[10:11], -1
	s_and_saveexec_b64 s[18:19], s[2:3]
	s_cbranch_execz .LBB7_54
; %bb.3:
	v_sub_u32_e32 v4, s7, v4
	v_mul_lo_u32 v4, v4, s0
	v_add_lshl_u32 v4, v4, v0, 4
	v_ashrrev_i32_e32 v5, 31, v4
	v_cmp_gt_i64_e32 vcc, s[8:9], v[4:5]
	s_and_b64 exec, exec, vcc
	s_cbranch_execz .LBB7_54
; %bb.4:
	s_load_dwordx4 s[20:23], s[4:5], 0x0
	s_load_dword s1, s[4:5], 0x4c
	v_mul_lo_u32 v9, v1, s14
	v_mul_lo_u32 v3, s12, v3
	;; [unrolled: 1-line block ×3, first 2 shown]
	s_waitcnt lgkmcnt(0)
	v_mov_b32_e32 v0, s20
	v_mov_b32_e32 v1, s21
	v_mad_u64_u32 v[6:7], s[2:3], s12, v2, v[0:1]
	v_ashrrev_i32_e32 v0, 31, v9
	v_mov_b32_e32 v1, s23
	v_add_co_u32_e32 v14, vcc, s22, v9
	s_mul_i32 s0, s0, s1
	v_add3_u32 v7, v8, v7, v3
	v_addc_co_u32_e32 v15, vcc, v1, v0, vcc
	s_lshl_b32 s12, s0, 4
	s_mov_b64 s[4:5], 0
	v_mov_b32_e32 v9, 0
	s_mov_b32 s13, 0xffff0000
	s_branch .LBB7_6
.LBB7_5:                                ;   in Loop: Header=BB7_6 Depth=1
	s_or_b64 exec, exec, s[6:7]
	v_add_u32_e32 v4, s12, v4
	v_ashrrev_i32_e32 v5, 31, v4
	v_cmp_le_i64_e32 vcc, s[8:9], v[4:5]
	s_or_b64 s[4:5], vcc, s[4:5]
	s_andn2_b64 exec, exec, s[4:5]
	s_cbranch_execz .LBB7_54
.LBB7_6:                                ; =>This Loop Header: Depth=1
                                        ;     Child Loop BB7_8 Depth 2
                                        ;     Child Loop BB7_14 Depth 2
	;; [unrolled: 1-line block ×8, first 2 shown]
	v_add_co_u32_e32 v0, vcc, v14, v4
	v_addc_co_u32_e32 v1, vcc, v15, v5, vcc
	v_add_co_u32_e32 v16, vcc, v6, v4
	v_addc_co_u32_e32 v5, vcc, v7, v5, vcc
	v_and_b32_e32 v8, 2, v16
	v_sub_co_u32_e32 v10, vcc, 0, v8
	v_subb_co_u32_e64 v11, s[0:1], 0, 0, vcc
	v_add_co_u32_e32 v10, vcc, v16, v10
	v_addc_co_u32_e32 v11, vcc, v5, v11, vcc
	global_load_dwordx4 v[0:3], v[0:1], off
	v_cmp_eq_u64_e32 vcc, 0, v[8:9]
	global_load_dword v13, v[10:11], off
	v_cmp_ne_u32_e64 s[0:1], 0, v8
	s_mov_b64 s[6:7], 0
	s_branch .LBB7_8
.LBB7_7:                                ;   in Loop: Header=BB7_8 Depth=2
	s_or_b64 exec, exec, s[2:3]
	global_atomic_cmpswap v8, v[10:11], v[12:13], off glc
	s_waitcnt vmcnt(0)
	v_cmp_eq_u32_e64 s[2:3], v13, v8
	s_or_b64 s[6:7], s[2:3], s[6:7]
	v_mov_b32_e32 v13, v8
	s_andn2_b64 exec, exec, s[6:7]
	s_cbranch_execz .LBB7_12
.LBB7_8:                                ;   Parent Loop BB7_6 Depth=1
                                        ; =>  This Inner Loop Header: Depth=2
	s_waitcnt vmcnt(0)
	v_cndmask_b32_sdwa v8, v13, v13, vcc dst_sel:DWORD dst_unused:UNUSED_PAD src0_sel:WORD_1 src1_sel:DWORD
	v_add_f16_e32 v8, v0, v8
	s_and_saveexec_b64 s[2:3], s[0:1]
	s_xor_b64 s[2:3], exec, s[2:3]
; %bb.9:                                ;   in Loop: Header=BB7_8 Depth=2
	v_and_b32_e32 v12, 0xffff, v13
	v_lshl_or_b32 v12, v8, 16, v12
                                        ; implicit-def: $vgpr8
; %bb.10:                               ;   in Loop: Header=BB7_8 Depth=2
	s_andn2_saveexec_b64 s[2:3], s[2:3]
	s_cbranch_execz .LBB7_7
; %bb.11:                               ;   in Loop: Header=BB7_8 Depth=2
	v_and_or_b32 v12, v13, s13, v8
	s_branch .LBB7_7
.LBB7_12:                               ;   in Loop: Header=BB7_6 Depth=1
	s_or_b64 exec, exec, s[6:7]
	v_add_u32_e32 v8, 2, v16
	v_and_b32_e32 v8, 2, v8
	v_sub_co_u32_e32 v10, vcc, 0, v8
	v_subb_co_u32_e64 v11, s[0:1], 0, 0, vcc
	v_add_co_u32_e32 v10, vcc, v16, v10
	v_addc_co_u32_e32 v11, vcc, v5, v11, vcc
	global_load_dword v13, v[10:11], off offset:2
	s_mov_b64 s[6:7], 0
	v_cmp_eq_u32_e32 vcc, 0, v8
	v_cmp_ne_u32_e64 s[0:1], 0, v8
	s_branch .LBB7_14
.LBB7_13:                               ;   in Loop: Header=BB7_14 Depth=2
	s_or_b64 exec, exec, s[2:3]
	global_atomic_cmpswap v8, v[10:11], v[12:13], off offset:2 glc
	s_waitcnt vmcnt(0)
	v_cmp_eq_u32_e64 s[2:3], v13, v8
	s_or_b64 s[6:7], s[2:3], s[6:7]
	v_mov_b32_e32 v13, v8
	s_andn2_b64 exec, exec, s[6:7]
	s_cbranch_execz .LBB7_18
.LBB7_14:                               ;   Parent Loop BB7_6 Depth=1
                                        ; =>  This Inner Loop Header: Depth=2
	s_waitcnt vmcnt(0)
	v_cndmask_b32_sdwa v8, v13, v13, vcc dst_sel:DWORD dst_unused:UNUSED_PAD src0_sel:WORD_1 src1_sel:DWORD
	v_add_f16_sdwa v8, v0, v8 dst_sel:DWORD dst_unused:UNUSED_PAD src0_sel:WORD_1 src1_sel:DWORD
	s_and_saveexec_b64 s[2:3], s[0:1]
	s_xor_b64 s[2:3], exec, s[2:3]
; %bb.15:                               ;   in Loop: Header=BB7_14 Depth=2
	v_and_b32_e32 v12, 0xffff, v13
	v_lshl_or_b32 v12, v8, 16, v12
                                        ; implicit-def: $vgpr8
; %bb.16:                               ;   in Loop: Header=BB7_14 Depth=2
	s_andn2_saveexec_b64 s[2:3], s[2:3]
	s_cbranch_execz .LBB7_13
; %bb.17:                               ;   in Loop: Header=BB7_14 Depth=2
	v_and_or_b32 v12, v13, s13, v8
	s_branch .LBB7_13
.LBB7_18:                               ;   in Loop: Header=BB7_6 Depth=1
	s_or_b64 exec, exec, s[6:7]
	v_add_u32_e32 v0, 4, v16
	v_and_b32_e32 v0, 2, v0
	v_sub_co_u32_e32 v8, vcc, 0, v0
	v_subb_co_u32_e64 v11, s[0:1], 0, 0, vcc
	v_add_co_u32_e32 v10, vcc, v16, v8
	v_addc_co_u32_e32 v11, vcc, v5, v11, vcc
	global_load_dword v13, v[10:11], off offset:4
	s_mov_b64 s[6:7], 0
	v_cmp_eq_u32_e32 vcc, 0, v0
	v_cmp_ne_u32_e64 s[0:1], 0, v0
	s_branch .LBB7_20
.LBB7_19:                               ;   in Loop: Header=BB7_20 Depth=2
	s_or_b64 exec, exec, s[2:3]
	global_atomic_cmpswap v0, v[10:11], v[12:13], off offset:4 glc
	s_waitcnt vmcnt(0)
	v_cmp_eq_u32_e64 s[2:3], v13, v0
	s_or_b64 s[6:7], s[2:3], s[6:7]
	v_mov_b32_e32 v13, v0
	s_andn2_b64 exec, exec, s[6:7]
	s_cbranch_execz .LBB7_24
.LBB7_20:                               ;   Parent Loop BB7_6 Depth=1
                                        ; =>  This Inner Loop Header: Depth=2
	s_waitcnt vmcnt(0)
	v_cndmask_b32_sdwa v0, v13, v13, vcc dst_sel:DWORD dst_unused:UNUSED_PAD src0_sel:WORD_1 src1_sel:DWORD
	v_add_f16_e32 v0, v1, v0
	s_and_saveexec_b64 s[2:3], s[0:1]
	s_xor_b64 s[2:3], exec, s[2:3]
; %bb.21:                               ;   in Loop: Header=BB7_20 Depth=2
	v_and_b32_e32 v8, 0xffff, v13
	v_lshl_or_b32 v12, v0, 16, v8
                                        ; implicit-def: $vgpr0
; %bb.22:                               ;   in Loop: Header=BB7_20 Depth=2
	s_andn2_saveexec_b64 s[2:3], s[2:3]
	s_cbranch_execz .LBB7_19
; %bb.23:                               ;   in Loop: Header=BB7_20 Depth=2
	v_and_or_b32 v12, v13, s13, v0
	s_branch .LBB7_19
.LBB7_24:                               ;   in Loop: Header=BB7_6 Depth=1
	s_or_b64 exec, exec, s[6:7]
	v_add_u32_e32 v0, 6, v16
	v_and_b32_e32 v0, 2, v0
	v_sub_co_u32_e32 v8, vcc, 0, v0
	v_subb_co_u32_e64 v11, s[0:1], 0, 0, vcc
	v_add_co_u32_e32 v10, vcc, v16, v8
	v_addc_co_u32_e32 v11, vcc, v5, v11, vcc
	global_load_dword v13, v[10:11], off offset:6
	s_mov_b64 s[6:7], 0
	v_cmp_eq_u32_e32 vcc, 0, v0
	v_cmp_ne_u32_e64 s[0:1], 0, v0
	s_branch .LBB7_26
.LBB7_25:                               ;   in Loop: Header=BB7_26 Depth=2
	s_or_b64 exec, exec, s[2:3]
	global_atomic_cmpswap v0, v[10:11], v[12:13], off offset:6 glc
	s_waitcnt vmcnt(0)
	v_cmp_eq_u32_e64 s[2:3], v13, v0
	s_or_b64 s[6:7], s[2:3], s[6:7]
	v_mov_b32_e32 v13, v0
	s_andn2_b64 exec, exec, s[6:7]
	s_cbranch_execz .LBB7_30
.LBB7_26:                               ;   Parent Loop BB7_6 Depth=1
                                        ; =>  This Inner Loop Header: Depth=2
	s_waitcnt vmcnt(0)
	v_cndmask_b32_sdwa v0, v13, v13, vcc dst_sel:DWORD dst_unused:UNUSED_PAD src0_sel:WORD_1 src1_sel:DWORD
	v_add_f16_sdwa v0, v1, v0 dst_sel:DWORD dst_unused:UNUSED_PAD src0_sel:WORD_1 src1_sel:DWORD
	s_and_saveexec_b64 s[2:3], s[0:1]
	s_xor_b64 s[2:3], exec, s[2:3]
; %bb.27:                               ;   in Loop: Header=BB7_26 Depth=2
	v_and_b32_e32 v8, 0xffff, v13
	v_lshl_or_b32 v12, v0, 16, v8
                                        ; implicit-def: $vgpr0
; %bb.28:                               ;   in Loop: Header=BB7_26 Depth=2
	s_andn2_saveexec_b64 s[2:3], s[2:3]
	s_cbranch_execz .LBB7_25
; %bb.29:                               ;   in Loop: Header=BB7_26 Depth=2
	v_and_or_b32 v12, v13, s13, v0
	s_branch .LBB7_25
.LBB7_30:                               ;   in Loop: Header=BB7_6 Depth=1
	s_or_b64 exec, exec, s[6:7]
	v_add_u32_e32 v0, 8, v16
	v_and_b32_e32 v8, 2, v0
	v_sub_co_u32_e32 v0, vcc, 0, v8
	v_subb_co_u32_e64 v1, s[0:1], 0, 0, vcc
	v_add_co_u32_e32 v0, vcc, v16, v0
	v_addc_co_u32_e32 v1, vcc, v5, v1, vcc
	global_load_dword v11, v[0:1], off offset:8
	s_mov_b64 s[6:7], 0
	v_cmp_eq_u32_e32 vcc, 0, v8
	v_cmp_ne_u32_e64 s[0:1], 0, v8
	s_branch .LBB7_32
.LBB7_31:                               ;   in Loop: Header=BB7_32 Depth=2
	s_or_b64 exec, exec, s[2:3]
	global_atomic_cmpswap v8, v[0:1], v[10:11], off offset:8 glc
	s_waitcnt vmcnt(0)
	v_cmp_eq_u32_e64 s[2:3], v11, v8
	s_or_b64 s[6:7], s[2:3], s[6:7]
	v_mov_b32_e32 v11, v8
	s_andn2_b64 exec, exec, s[6:7]
	s_cbranch_execz .LBB7_36
.LBB7_32:                               ;   Parent Loop BB7_6 Depth=1
                                        ; =>  This Inner Loop Header: Depth=2
	s_waitcnt vmcnt(0)
	v_cndmask_b32_sdwa v8, v11, v11, vcc dst_sel:DWORD dst_unused:UNUSED_PAD src0_sel:WORD_1 src1_sel:DWORD
	v_add_f16_e32 v8, v2, v8
	s_and_saveexec_b64 s[2:3], s[0:1]
	s_xor_b64 s[2:3], exec, s[2:3]
; %bb.33:                               ;   in Loop: Header=BB7_32 Depth=2
	v_and_b32_e32 v10, 0xffff, v11
	v_lshl_or_b32 v10, v8, 16, v10
                                        ; implicit-def: $vgpr8
; %bb.34:                               ;   in Loop: Header=BB7_32 Depth=2
	s_andn2_saveexec_b64 s[2:3], s[2:3]
	s_cbranch_execz .LBB7_31
; %bb.35:                               ;   in Loop: Header=BB7_32 Depth=2
	v_and_or_b32 v10, v11, s13, v8
	s_branch .LBB7_31
.LBB7_36:                               ;   in Loop: Header=BB7_6 Depth=1
	s_or_b64 exec, exec, s[6:7]
	v_add_u32_e32 v0, 10, v16
	v_and_b32_e32 v8, 2, v0
	v_sub_co_u32_e32 v0, vcc, 0, v8
	v_subb_co_u32_e64 v1, s[0:1], 0, 0, vcc
	v_add_co_u32_e32 v0, vcc, v16, v0
	v_addc_co_u32_e32 v1, vcc, v5, v1, vcc
	global_load_dword v11, v[0:1], off offset:10
	s_mov_b64 s[6:7], 0
	v_cmp_eq_u32_e32 vcc, 0, v8
	v_cmp_ne_u32_e64 s[0:1], 0, v8
	s_branch .LBB7_38
.LBB7_37:                               ;   in Loop: Header=BB7_38 Depth=2
	s_or_b64 exec, exec, s[2:3]
	global_atomic_cmpswap v8, v[0:1], v[10:11], off offset:10 glc
	s_waitcnt vmcnt(0)
	v_cmp_eq_u32_e64 s[2:3], v11, v8
	s_or_b64 s[6:7], s[2:3], s[6:7]
	v_mov_b32_e32 v11, v8
	s_andn2_b64 exec, exec, s[6:7]
	s_cbranch_execz .LBB7_42
.LBB7_38:                               ;   Parent Loop BB7_6 Depth=1
                                        ; =>  This Inner Loop Header: Depth=2
	s_waitcnt vmcnt(0)
	v_cndmask_b32_sdwa v8, v11, v11, vcc dst_sel:DWORD dst_unused:UNUSED_PAD src0_sel:WORD_1 src1_sel:DWORD
	v_add_f16_sdwa v8, v2, v8 dst_sel:DWORD dst_unused:UNUSED_PAD src0_sel:WORD_1 src1_sel:DWORD
	s_and_saveexec_b64 s[2:3], s[0:1]
	s_xor_b64 s[2:3], exec, s[2:3]
; %bb.39:                               ;   in Loop: Header=BB7_38 Depth=2
	v_and_b32_e32 v10, 0xffff, v11
	v_lshl_or_b32 v10, v8, 16, v10
                                        ; implicit-def: $vgpr8
; %bb.40:                               ;   in Loop: Header=BB7_38 Depth=2
	s_andn2_saveexec_b64 s[2:3], s[2:3]
	s_cbranch_execz .LBB7_37
; %bb.41:                               ;   in Loop: Header=BB7_38 Depth=2
	v_and_or_b32 v10, v11, s13, v8
	s_branch .LBB7_37
.LBB7_42:                               ;   in Loop: Header=BB7_6 Depth=1
	s_or_b64 exec, exec, s[6:7]
	v_add_u32_e32 v0, 12, v16
	v_and_b32_e32 v2, 2, v0
	v_sub_co_u32_e32 v0, vcc, 0, v2
	v_subb_co_u32_e64 v1, s[0:1], 0, 0, vcc
	v_add_co_u32_e32 v0, vcc, v16, v0
	v_addc_co_u32_e32 v1, vcc, v5, v1, vcc
	global_load_dword v11, v[0:1], off offset:12
	s_mov_b64 s[6:7], 0
	v_cmp_eq_u32_e32 vcc, 0, v2
	v_cmp_ne_u32_e64 s[0:1], 0, v2
	s_branch .LBB7_44
.LBB7_43:                               ;   in Loop: Header=BB7_44 Depth=2
	s_or_b64 exec, exec, s[2:3]
	global_atomic_cmpswap v2, v[0:1], v[10:11], off offset:12 glc
	s_waitcnt vmcnt(0)
	v_cmp_eq_u32_e64 s[2:3], v11, v2
	s_or_b64 s[6:7], s[2:3], s[6:7]
	v_mov_b32_e32 v11, v2
	s_andn2_b64 exec, exec, s[6:7]
	s_cbranch_execz .LBB7_48
.LBB7_44:                               ;   Parent Loop BB7_6 Depth=1
                                        ; =>  This Inner Loop Header: Depth=2
	s_waitcnt vmcnt(0)
	v_cndmask_b32_sdwa v2, v11, v11, vcc dst_sel:DWORD dst_unused:UNUSED_PAD src0_sel:WORD_1 src1_sel:DWORD
	v_add_f16_e32 v2, v3, v2
	s_and_saveexec_b64 s[2:3], s[0:1]
	s_xor_b64 s[2:3], exec, s[2:3]
; %bb.45:                               ;   in Loop: Header=BB7_44 Depth=2
	v_and_b32_e32 v8, 0xffff, v11
	v_lshl_or_b32 v10, v2, 16, v8
                                        ; implicit-def: $vgpr2
; %bb.46:                               ;   in Loop: Header=BB7_44 Depth=2
	s_andn2_saveexec_b64 s[2:3], s[2:3]
	s_cbranch_execz .LBB7_43
; %bb.47:                               ;   in Loop: Header=BB7_44 Depth=2
	v_and_or_b32 v10, v11, s13, v2
	s_branch .LBB7_43
.LBB7_48:                               ;   in Loop: Header=BB7_6 Depth=1
	s_or_b64 exec, exec, s[6:7]
	v_add_u32_e32 v0, 14, v16
	v_and_b32_e32 v2, 2, v0
	v_sub_co_u32_e32 v0, vcc, 0, v2
	v_subb_co_u32_e64 v1, s[0:1], 0, 0, vcc
	v_add_co_u32_e32 v0, vcc, v16, v0
	v_addc_co_u32_e32 v1, vcc, v5, v1, vcc
	global_load_dword v11, v[0:1], off offset:14
	s_mov_b64 s[6:7], 0
	v_cmp_eq_u32_e32 vcc, 0, v2
	v_cmp_ne_u32_e64 s[0:1], 0, v2
	s_branch .LBB7_50
.LBB7_49:                               ;   in Loop: Header=BB7_50 Depth=2
	s_or_b64 exec, exec, s[2:3]
	global_atomic_cmpswap v2, v[0:1], v[10:11], off offset:14 glc
	s_waitcnt vmcnt(0)
	v_cmp_eq_u32_e64 s[2:3], v11, v2
	s_or_b64 s[6:7], s[2:3], s[6:7]
	v_mov_b32_e32 v11, v2
	s_andn2_b64 exec, exec, s[6:7]
	s_cbranch_execz .LBB7_5
.LBB7_50:                               ;   Parent Loop BB7_6 Depth=1
                                        ; =>  This Inner Loop Header: Depth=2
	s_waitcnt vmcnt(0)
	v_cndmask_b32_sdwa v2, v11, v11, vcc dst_sel:DWORD dst_unused:UNUSED_PAD src0_sel:WORD_1 src1_sel:DWORD
	v_add_f16_sdwa v2, v3, v2 dst_sel:DWORD dst_unused:UNUSED_PAD src0_sel:WORD_1 src1_sel:DWORD
	s_and_saveexec_b64 s[2:3], s[0:1]
	s_xor_b64 s[2:3], exec, s[2:3]
; %bb.51:                               ;   in Loop: Header=BB7_50 Depth=2
	v_and_b32_e32 v5, 0xffff, v11
	v_lshl_or_b32 v10, v2, 16, v5
                                        ; implicit-def: $vgpr2
; %bb.52:                               ;   in Loop: Header=BB7_50 Depth=2
	s_andn2_saveexec_b64 s[2:3], s[2:3]
	s_cbranch_execz .LBB7_49
; %bb.53:                               ;   in Loop: Header=BB7_50 Depth=2
	v_and_or_b32 v10, v11, s13, v2
	s_branch .LBB7_49
.LBB7_54:
	s_or_b64 exec, exec, s[18:19]
	s_orn2_b64 s[2:3], s[10:11], exec
.LBB7_55:
	s_or_b64 exec, exec, s[16:17]
	s_and_b64 exec, exec, s[2:3]
	s_cbranch_execnz .LBB7_57
.LBB7_56:
	s_endpgm
.LBB7_57:
	s_trap 2
	; divergent unreachable
	s_endpgm
	.section	.rodata,"a",@progbits
	.p2align	6, 0x0
	.amdhsa_kernel _ZN2at6native29vectorized_scatter_add_kernelILi16EN3c104HalfEiEEvPT0_PKS4_PKT1_illllii
		.amdhsa_group_segment_fixed_size 0
		.amdhsa_private_segment_fixed_size 0
		.amdhsa_kernarg_size 328
		.amdhsa_user_sgpr_count 6
		.amdhsa_user_sgpr_private_segment_buffer 1
		.amdhsa_user_sgpr_dispatch_ptr 0
		.amdhsa_user_sgpr_queue_ptr 0
		.amdhsa_user_sgpr_kernarg_segment_ptr 1
		.amdhsa_user_sgpr_dispatch_id 0
		.amdhsa_user_sgpr_flat_scratch_init 0
		.amdhsa_user_sgpr_private_segment_size 0
		.amdhsa_uses_dynamic_stack 0
		.amdhsa_system_sgpr_private_segment_wavefront_offset 0
		.amdhsa_system_sgpr_workgroup_id_x 1
		.amdhsa_system_sgpr_workgroup_id_y 1
		.amdhsa_system_sgpr_workgroup_id_z 0
		.amdhsa_system_sgpr_workgroup_info 0
		.amdhsa_system_vgpr_workitem_id 0
		.amdhsa_next_free_vgpr 17
		.amdhsa_next_free_sgpr 24
		.amdhsa_reserve_vcc 1
		.amdhsa_reserve_flat_scratch 0
		.amdhsa_float_round_mode_32 0
		.amdhsa_float_round_mode_16_64 0
		.amdhsa_float_denorm_mode_32 3
		.amdhsa_float_denorm_mode_16_64 3
		.amdhsa_dx10_clamp 1
		.amdhsa_ieee_mode 1
		.amdhsa_fp16_overflow 0
		.amdhsa_exception_fp_ieee_invalid_op 0
		.amdhsa_exception_fp_denorm_src 0
		.amdhsa_exception_fp_ieee_div_zero 0
		.amdhsa_exception_fp_ieee_overflow 0
		.amdhsa_exception_fp_ieee_underflow 0
		.amdhsa_exception_fp_ieee_inexact 0
		.amdhsa_exception_int_div_zero 0
	.end_amdhsa_kernel
	.section	.text._ZN2at6native29vectorized_scatter_add_kernelILi16EN3c104HalfEiEEvPT0_PKS4_PKT1_illllii,"axG",@progbits,_ZN2at6native29vectorized_scatter_add_kernelILi16EN3c104HalfEiEEvPT0_PKS4_PKT1_illllii,comdat
.Lfunc_end7:
	.size	_ZN2at6native29vectorized_scatter_add_kernelILi16EN3c104HalfEiEEvPT0_PKS4_PKT1_illllii, .Lfunc_end7-_ZN2at6native29vectorized_scatter_add_kernelILi16EN3c104HalfEiEEvPT0_PKS4_PKT1_illllii
                                        ; -- End function
	.set _ZN2at6native29vectorized_scatter_add_kernelILi16EN3c104HalfEiEEvPT0_PKS4_PKT1_illllii.num_vgpr, 17
	.set _ZN2at6native29vectorized_scatter_add_kernelILi16EN3c104HalfEiEEvPT0_PKS4_PKT1_illllii.num_agpr, 0
	.set _ZN2at6native29vectorized_scatter_add_kernelILi16EN3c104HalfEiEEvPT0_PKS4_PKT1_illllii.numbered_sgpr, 24
	.set _ZN2at6native29vectorized_scatter_add_kernelILi16EN3c104HalfEiEEvPT0_PKS4_PKT1_illllii.num_named_barrier, 0
	.set _ZN2at6native29vectorized_scatter_add_kernelILi16EN3c104HalfEiEEvPT0_PKS4_PKT1_illllii.private_seg_size, 0
	.set _ZN2at6native29vectorized_scatter_add_kernelILi16EN3c104HalfEiEEvPT0_PKS4_PKT1_illllii.uses_vcc, 1
	.set _ZN2at6native29vectorized_scatter_add_kernelILi16EN3c104HalfEiEEvPT0_PKS4_PKT1_illllii.uses_flat_scratch, 0
	.set _ZN2at6native29vectorized_scatter_add_kernelILi16EN3c104HalfEiEEvPT0_PKS4_PKT1_illllii.has_dyn_sized_stack, 0
	.set _ZN2at6native29vectorized_scatter_add_kernelILi16EN3c104HalfEiEEvPT0_PKS4_PKT1_illllii.has_recursion, 0
	.set _ZN2at6native29vectorized_scatter_add_kernelILi16EN3c104HalfEiEEvPT0_PKS4_PKT1_illllii.has_indirect_call, 0
	.section	.AMDGPU.csdata,"",@progbits
; Kernel info:
; codeLenInByte = 1788
; TotalNumSgprs: 28
; NumVgprs: 17
; ScratchSize: 0
; MemoryBound: 0
; FloatMode: 240
; IeeeMode: 1
; LDSByteSize: 0 bytes/workgroup (compile time only)
; SGPRBlocks: 3
; VGPRBlocks: 4
; NumSGPRsForWavesPerEU: 28
; NumVGPRsForWavesPerEU: 17
; Occupancy: 10
; WaveLimiterHint : 1
; COMPUTE_PGM_RSRC2:SCRATCH_EN: 0
; COMPUTE_PGM_RSRC2:USER_SGPR: 6
; COMPUTE_PGM_RSRC2:TRAP_HANDLER: 0
; COMPUTE_PGM_RSRC2:TGID_X_EN: 1
; COMPUTE_PGM_RSRC2:TGID_Y_EN: 1
; COMPUTE_PGM_RSRC2:TGID_Z_EN: 0
; COMPUTE_PGM_RSRC2:TIDIG_COMP_CNT: 0
	.section	.text._ZN2at6native29vectorized_scatter_add_kernelILi16EN3c108BFloat16ElEEvPT0_PKS4_PKT1_illllii,"axG",@progbits,_ZN2at6native29vectorized_scatter_add_kernelILi16EN3c108BFloat16ElEEvPT0_PKS4_PKT1_illllii,comdat
	.protected	_ZN2at6native29vectorized_scatter_add_kernelILi16EN3c108BFloat16ElEEvPT0_PKS4_PKT1_illllii ; -- Begin function _ZN2at6native29vectorized_scatter_add_kernelILi16EN3c108BFloat16ElEEvPT0_PKS4_PKT1_illllii
	.globl	_ZN2at6native29vectorized_scatter_add_kernelILi16EN3c108BFloat16ElEEvPT0_PKS4_PKT1_illllii
	.p2align	8
	.type	_ZN2at6native29vectorized_scatter_add_kernelILi16EN3c108BFloat16ElEEvPT0_PKS4_PKT1_illllii,@function
_ZN2at6native29vectorized_scatter_add_kernelILi16EN3c108BFloat16ElEEvPT0_PKS4_PKT1_illllii: ; @_ZN2at6native29vectorized_scatter_add_kernelILi16EN3c108BFloat16ElEEvPT0_PKS4_PKT1_illllii
; %bb.0:
	s_load_dwordx2 s[0:1], s[4:5], 0x40
	s_waitcnt lgkmcnt(0)
	v_cvt_f32_u32_e32 v1, s0
	s_sub_i32 s2, 0, s0
	s_mul_i32 s1, s1, s6
	v_rcp_iflag_f32_e32 v1, v1
	v_mul_f32_e32 v1, 0x4f7ffffe, v1
	v_cvt_u32_f32_e32 v1, v1
	v_mul_lo_u32 v2, s2, v1
	s_load_dword s2, s[4:5], 0x18
	v_mul_hi_u32 v2, v1, v2
	v_add_u32_e32 v1, v1, v2
	v_mul_hi_u32 v1, v0, v1
	v_mul_lo_u32 v2, v1, s0
	v_add_u32_e32 v3, 1, v1
	v_sub_u32_e32 v2, v0, v2
	v_cmp_le_u32_e32 vcc, s0, v2
	v_cndmask_b32_e32 v1, v1, v3, vcc
	v_subrev_u32_e32 v3, s0, v2
	v_cndmask_b32_e32 v2, v2, v3, vcc
	v_add_u32_e32 v3, 1, v1
	v_cmp_le_u32_e32 vcc, s0, v2
	v_cndmask_b32_e32 v4, v1, v3, vcc
	v_add_u32_e32 v1, s1, v4
	s_waitcnt lgkmcnt(0)
	v_cmp_gt_i32_e32 vcc, s2, v1
	s_and_saveexec_b64 s[2:3], vcc
	s_cbranch_execz .LBB8_24
; %bb.1:
	s_load_dwordx2 s[2:3], s[4:5], 0x10
	v_ashrrev_i32_e32 v2, 31, v1
	v_lshlrev_b64 v[2:3], 3, v[1:2]
	s_mov_b64 s[8:9], -1
	s_waitcnt lgkmcnt(0)
	v_mov_b32_e32 v5, s3
	v_add_co_u32_e32 v2, vcc, s2, v2
	v_addc_co_u32_e32 v3, vcc, v5, v3, vcc
	global_load_dwordx2 v[2:3], v[2:3], off
	s_waitcnt vmcnt(0)
	v_cmp_lt_i64_e32 vcc, -1, v[2:3]
	s_and_saveexec_b64 s[2:3], vcc
	s_cbranch_execz .LBB8_23
; %bb.2:
	s_load_dwordx8 s[8:15], s[4:5], 0x20
	s_getpc_b64 s[16:17]
	s_add_u32 s16, s16, .str.1@rel32@lo+4
	s_addc_u32 s17, s17, .str.1@rel32@hi+12
	s_cmp_eq_u64 s[16:17], 0
	s_waitcnt lgkmcnt(0)
	v_cmp_le_i64_e32 vcc, s[10:11], v[2:3]
	s_cselect_b64 s[10:11], -1, 0
	s_or_b64 s[10:11], vcc, s[10:11]
	s_xor_b64 s[18:19], s[10:11], -1
	s_and_saveexec_b64 s[16:17], s[18:19]
	s_cbranch_execz .LBB8_22
; %bb.3:
	v_sub_u32_e32 v4, s7, v4
	v_mul_lo_u32 v4, v4, s0
	v_add_lshl_u32 v4, v4, v0, 4
	v_ashrrev_i32_e32 v5, 31, v4
	v_cmp_gt_i64_e32 vcc, s[8:9], v[4:5]
	s_and_b64 exec, exec, vcc
	s_cbranch_execz .LBB8_22
; %bb.4:
	s_load_dwordx4 s[20:23], s[4:5], 0x0
	s_load_dword s1, s[4:5], 0x4c
	v_mul_lo_u32 v9, v1, s14
	v_mul_lo_u32 v8, v2, s13
	;; [unrolled: 1-line block ×3, first 2 shown]
	s_waitcnt lgkmcnt(0)
	v_mov_b32_e32 v0, s20
	v_mov_b32_e32 v1, s21
	v_mad_u64_u32 v[6:7], s[4:5], v2, s12, v[0:1]
	v_ashrrev_i32_e32 v0, 31, v9
	v_mov_b32_e32 v1, s23
	v_add_co_u32_e32 v14, vcc, s22, v9
	s_mul_i32 s0, s0, s1
	v_add3_u32 v7, v3, v7, v8
	v_addc_co_u32_e32 v15, vcc, v1, v0, vcc
	s_lshl_b32 s12, s0, 4
	s_mov_b64 s[4:5], 0
	v_mov_b32_e32 v9, 0
	s_movk_i32 s13, 0x7fff
	s_mov_b32 s14, 0xffff0000
	v_mov_b32_e32 v16, 0x7fc0
.LBB8_5:                                ; =>This Loop Header: Depth=1
                                        ;     Child Loop BB8_6 Depth 2
                                        ;     Child Loop BB8_8 Depth 2
	;; [unrolled: 1-line block ×8, first 2 shown]
	v_add_co_u32_e32 v0, vcc, v14, v4
	v_addc_co_u32_e32 v1, vcc, v15, v5, vcc
	v_add_co_u32_e32 v17, vcc, v6, v4
	v_addc_co_u32_e32 v5, vcc, v7, v5, vcc
	v_and_b32_e32 v8, 2, v17
	v_sub_co_u32_e32 v10, vcc, 0, v8
	v_subb_co_u32_e64 v11, s[0:1], 0, 0, vcc
	v_add_co_u32_e32 v10, vcc, v17, v10
	global_load_dwordx4 v[0:3], v[0:1], off
	v_addc_co_u32_e32 v11, vcc, v5, v11, vcc
	global_load_dword v13, v[10:11], off
	v_cmp_eq_u64_e64 s[0:1], 0, v[8:9]
	s_mov_b64 s[6:7], 0
	s_waitcnt vmcnt(1)
	v_lshlrev_b32_e32 v8, 16, v0
.LBB8_6:                                ;   Parent Loop BB8_5 Depth=1
                                        ; =>  This Inner Loop Header: Depth=2
	s_mov_b64 vcc, s[0:1]
	s_waitcnt vmcnt(0)
	v_and_b32_e32 v12, 0xffff, v13
	v_cndmask_b32_sdwa v18, v13, v12, vcc dst_sel:WORD_1 dst_unused:UNUSED_PAD src0_sel:WORD_1 src1_sel:DWORD
	v_add_f32_e32 v18, v8, v18
	v_bfe_u32 v19, v18, 16, 1
	v_cmp_o_f32_e32 vcc, v18, v18
	v_add3_u32 v18, v18, v19, s13
	v_cndmask_b32_sdwa v18, v16, v18, vcc dst_sel:DWORD dst_unused:UNUSED_PAD src0_sel:DWORD src1_sel:WORD_1
	v_lshl_or_b32 v12, v18, 16, v12
	v_and_or_b32 v18, v13, s14, v18
	v_cndmask_b32_e64 v12, v12, v18, s[0:1]
	global_atomic_cmpswap v12, v[10:11], v[12:13], off glc
	s_waitcnt vmcnt(0)
	v_cmp_eq_u32_e32 vcc, v13, v12
	s_or_b64 s[6:7], vcc, s[6:7]
	v_mov_b32_e32 v13, v12
	s_andn2_b64 exec, exec, s[6:7]
	s_cbranch_execnz .LBB8_6
; %bb.7:                                ;   in Loop: Header=BB8_5 Depth=1
	s_or_b64 exec, exec, s[6:7]
	v_add_u32_e32 v8, 2, v17
	v_and_b32_e32 v12, 2, v8
	v_sub_co_u32_e32 v8, vcc, 0, v12
	v_subb_co_u32_e64 v11, s[0:1], 0, 0, vcc
	v_add_co_u32_e32 v10, vcc, v17, v8
	v_addc_co_u32_e32 v11, vcc, v5, v11, vcc
	global_load_dword v13, v[10:11], off offset:2
	v_and_b32_e32 v8, 0xffff0000, v0
	s_mov_b64 s[6:7], 0
	v_cmp_eq_u32_e64 s[0:1], 0, v12
.LBB8_8:                                ;   Parent Loop BB8_5 Depth=1
                                        ; =>  This Inner Loop Header: Depth=2
	s_mov_b64 vcc, s[0:1]
	s_waitcnt vmcnt(0)
	v_and_b32_e32 v12, 0xffff, v13
	v_cndmask_b32_sdwa v18, v13, v12, vcc dst_sel:WORD_1 dst_unused:UNUSED_PAD src0_sel:WORD_1 src1_sel:DWORD
	v_add_f32_e32 v18, v8, v18
	v_bfe_u32 v19, v18, 16, 1
	v_cmp_o_f32_e32 vcc, v18, v18
	v_add3_u32 v18, v18, v19, s13
	v_cndmask_b32_sdwa v18, v16, v18, vcc dst_sel:DWORD dst_unused:UNUSED_PAD src0_sel:DWORD src1_sel:WORD_1
	v_lshl_or_b32 v12, v18, 16, v12
	v_and_or_b32 v18, v13, s14, v18
	v_cndmask_b32_e64 v12, v12, v18, s[0:1]
	global_atomic_cmpswap v12, v[10:11], v[12:13], off offset:2 glc
	s_waitcnt vmcnt(0)
	v_cmp_eq_u32_e32 vcc, v13, v12
	s_or_b64 s[6:7], vcc, s[6:7]
	v_mov_b32_e32 v13, v12
	s_andn2_b64 exec, exec, s[6:7]
	s_cbranch_execnz .LBB8_8
; %bb.9:                                ;   in Loop: Header=BB8_5 Depth=1
	s_or_b64 exec, exec, s[6:7]
	v_add_u32_e32 v8, 4, v17
	v_and_b32_e32 v8, 2, v8
	v_sub_co_u32_e32 v10, vcc, 0, v8
	v_subb_co_u32_e64 v11, s[0:1], 0, 0, vcc
	v_add_co_u32_e32 v10, vcc, v17, v10
	v_addc_co_u32_e32 v11, vcc, v5, v11, vcc
	global_load_dword v13, v[10:11], off offset:4
	v_alignbit_b32 v0, v1, v0, 16
	s_mov_b64 s[6:7], 0
	v_cmp_eq_u32_e64 s[0:1], 0, v8
	v_and_b32_e32 v0, 0xffff0000, v0
.LBB8_10:                               ;   Parent Loop BB8_5 Depth=1
                                        ; =>  This Inner Loop Header: Depth=2
	s_mov_b64 vcc, s[0:1]
	s_waitcnt vmcnt(0)
	v_and_b32_e32 v8, 0xffff, v13
	v_cndmask_b32_sdwa v12, v13, v8, vcc dst_sel:WORD_1 dst_unused:UNUSED_PAD src0_sel:WORD_1 src1_sel:DWORD
	v_add_f32_e32 v12, v0, v12
	v_bfe_u32 v18, v12, 16, 1
	v_cmp_o_f32_e32 vcc, v12, v12
	v_add3_u32 v12, v12, v18, s13
	v_cndmask_b32_sdwa v12, v16, v12, vcc dst_sel:DWORD dst_unused:UNUSED_PAD src0_sel:DWORD src1_sel:WORD_1
	v_lshl_or_b32 v8, v12, 16, v8
	v_and_or_b32 v12, v13, s14, v12
	v_cndmask_b32_e64 v12, v8, v12, s[0:1]
	global_atomic_cmpswap v8, v[10:11], v[12:13], off offset:4 glc
	s_waitcnt vmcnt(0)
	v_cmp_eq_u32_e32 vcc, v13, v8
	s_or_b64 s[6:7], vcc, s[6:7]
	v_mov_b32_e32 v13, v8
	s_andn2_b64 exec, exec, s[6:7]
	s_cbranch_execnz .LBB8_10
; %bb.11:                               ;   in Loop: Header=BB8_5 Depth=1
	s_or_b64 exec, exec, s[6:7]
	v_add_u32_e32 v0, 6, v17
	v_and_b32_e32 v0, 2, v0
	v_sub_co_u32_e32 v8, vcc, 0, v0
	v_subb_co_u32_e64 v11, s[0:1], 0, 0, vcc
	v_add_co_u32_e32 v10, vcc, v17, v8
	v_addc_co_u32_e32 v11, vcc, v5, v11, vcc
	global_load_dword v13, v[10:11], off offset:6
	s_mov_b64 s[6:7], 0
	v_cmp_eq_u32_e64 s[0:1], 0, v0
	v_and_b32_e32 v0, 0xffff0000, v1
.LBB8_12:                               ;   Parent Loop BB8_5 Depth=1
                                        ; =>  This Inner Loop Header: Depth=2
	s_mov_b64 vcc, s[0:1]
	s_waitcnt vmcnt(0)
	v_and_b32_e32 v1, 0xffff, v13
	v_cndmask_b32_sdwa v8, v13, v1, vcc dst_sel:WORD_1 dst_unused:UNUSED_PAD src0_sel:WORD_1 src1_sel:DWORD
	v_add_f32_e32 v8, v0, v8
	v_bfe_u32 v12, v8, 16, 1
	v_cmp_o_f32_e32 vcc, v8, v8
	v_add3_u32 v8, v8, v12, s13
	v_cndmask_b32_sdwa v8, v16, v8, vcc dst_sel:DWORD dst_unused:UNUSED_PAD src0_sel:DWORD src1_sel:WORD_1
	v_lshl_or_b32 v1, v8, 16, v1
	v_and_or_b32 v8, v13, s14, v8
	v_cndmask_b32_e64 v12, v1, v8, s[0:1]
	global_atomic_cmpswap v1, v[10:11], v[12:13], off offset:6 glc
	s_waitcnt vmcnt(0)
	v_cmp_eq_u32_e32 vcc, v13, v1
	s_or_b64 s[6:7], vcc, s[6:7]
	v_mov_b32_e32 v13, v1
	s_andn2_b64 exec, exec, s[6:7]
	s_cbranch_execnz .LBB8_12
; %bb.13:                               ;   in Loop: Header=BB8_5 Depth=1
	s_or_b64 exec, exec, s[6:7]
	v_add_u32_e32 v0, 8, v17
	v_and_b32_e32 v8, 2, v0
	v_sub_co_u32_e32 v0, vcc, 0, v8
	v_subb_co_u32_e64 v1, s[0:1], 0, 0, vcc
	v_add_co_u32_e32 v0, vcc, v17, v0
	v_addc_co_u32_e32 v1, vcc, v5, v1, vcc
	global_load_dword v11, v[0:1], off offset:8
	s_mov_b64 s[6:7], 0
	v_cmp_eq_u32_e64 s[0:1], 0, v8
	v_lshlrev_b32_e32 v8, 16, v2
.LBB8_14:                               ;   Parent Loop BB8_5 Depth=1
                                        ; =>  This Inner Loop Header: Depth=2
	s_mov_b64 vcc, s[0:1]
	s_waitcnt vmcnt(0)
	v_and_b32_e32 v10, 0xffff, v11
	v_cndmask_b32_sdwa v12, v11, v10, vcc dst_sel:WORD_1 dst_unused:UNUSED_PAD src0_sel:WORD_1 src1_sel:DWORD
	v_add_f32_e32 v12, v8, v12
	v_bfe_u32 v13, v12, 16, 1
	v_cmp_o_f32_e32 vcc, v12, v12
	v_add3_u32 v12, v12, v13, s13
	v_cndmask_b32_sdwa v12, v16, v12, vcc dst_sel:DWORD dst_unused:UNUSED_PAD src0_sel:DWORD src1_sel:WORD_1
	v_lshl_or_b32 v10, v12, 16, v10
	v_and_or_b32 v12, v11, s14, v12
	v_cndmask_b32_e64 v10, v10, v12, s[0:1]
	global_atomic_cmpswap v10, v[0:1], v[10:11], off offset:8 glc
	s_waitcnt vmcnt(0)
	v_cmp_eq_u32_e32 vcc, v11, v10
	s_or_b64 s[6:7], vcc, s[6:7]
	v_mov_b32_e32 v11, v10
	s_andn2_b64 exec, exec, s[6:7]
	s_cbranch_execnz .LBB8_14
; %bb.15:                               ;   in Loop: Header=BB8_5 Depth=1
	s_or_b64 exec, exec, s[6:7]
	v_add_u32_e32 v0, 10, v17
	v_and_b32_e32 v10, 2, v0
	v_sub_co_u32_e32 v0, vcc, 0, v10
	v_subb_co_u32_e64 v1, s[0:1], 0, 0, vcc
	v_add_co_u32_e32 v0, vcc, v17, v0
	v_addc_co_u32_e32 v1, vcc, v5, v1, vcc
	global_load_dword v11, v[0:1], off offset:10
	v_and_b32_e32 v8, 0xffff0000, v2
	s_mov_b64 s[6:7], 0
	v_cmp_eq_u32_e64 s[0:1], 0, v10
.LBB8_16:                               ;   Parent Loop BB8_5 Depth=1
                                        ; =>  This Inner Loop Header: Depth=2
	s_mov_b64 vcc, s[0:1]
	s_waitcnt vmcnt(0)
	v_and_b32_e32 v10, 0xffff, v11
	v_cndmask_b32_sdwa v12, v11, v10, vcc dst_sel:WORD_1 dst_unused:UNUSED_PAD src0_sel:WORD_1 src1_sel:DWORD
	v_add_f32_e32 v12, v8, v12
	v_bfe_u32 v13, v12, 16, 1
	v_cmp_o_f32_e32 vcc, v12, v12
	v_add3_u32 v12, v12, v13, s13
	v_cndmask_b32_sdwa v12, v16, v12, vcc dst_sel:DWORD dst_unused:UNUSED_PAD src0_sel:DWORD src1_sel:WORD_1
	v_lshl_or_b32 v10, v12, 16, v10
	v_and_or_b32 v12, v11, s14, v12
	v_cndmask_b32_e64 v10, v10, v12, s[0:1]
	global_atomic_cmpswap v10, v[0:1], v[10:11], off offset:10 glc
	s_waitcnt vmcnt(0)
	v_cmp_eq_u32_e32 vcc, v11, v10
	s_or_b64 s[6:7], vcc, s[6:7]
	v_mov_b32_e32 v11, v10
	s_andn2_b64 exec, exec, s[6:7]
	s_cbranch_execnz .LBB8_16
; %bb.17:                               ;   in Loop: Header=BB8_5 Depth=1
	s_or_b64 exec, exec, s[6:7]
	v_add_u32_e32 v0, 12, v17
	v_and_b32_e32 v8, 2, v0
	v_sub_co_u32_e32 v0, vcc, 0, v8
	v_subb_co_u32_e64 v1, s[0:1], 0, 0, vcc
	v_add_co_u32_e32 v0, vcc, v17, v0
	v_addc_co_u32_e32 v1, vcc, v5, v1, vcc
	global_load_dword v11, v[0:1], off offset:12
	v_alignbit_b32 v2, v3, v2, 16
	s_mov_b64 s[6:7], 0
	v_cmp_eq_u32_e64 s[0:1], 0, v8
	v_and_b32_e32 v2, 0xffff0000, v2
.LBB8_18:                               ;   Parent Loop BB8_5 Depth=1
                                        ; =>  This Inner Loop Header: Depth=2
	s_mov_b64 vcc, s[0:1]
	s_waitcnt vmcnt(0)
	v_and_b32_e32 v8, 0xffff, v11
	v_cndmask_b32_sdwa v10, v11, v8, vcc dst_sel:WORD_1 dst_unused:UNUSED_PAD src0_sel:WORD_1 src1_sel:DWORD
	v_add_f32_e32 v10, v2, v10
	v_bfe_u32 v12, v10, 16, 1
	v_cmp_o_f32_e32 vcc, v10, v10
	v_add3_u32 v10, v10, v12, s13
	v_cndmask_b32_sdwa v10, v16, v10, vcc dst_sel:DWORD dst_unused:UNUSED_PAD src0_sel:DWORD src1_sel:WORD_1
	v_lshl_or_b32 v8, v10, 16, v8
	v_and_or_b32 v10, v11, s14, v10
	v_cndmask_b32_e64 v10, v8, v10, s[0:1]
	global_atomic_cmpswap v8, v[0:1], v[10:11], off offset:12 glc
	s_waitcnt vmcnt(0)
	v_cmp_eq_u32_e32 vcc, v11, v8
	s_or_b64 s[6:7], vcc, s[6:7]
	v_mov_b32_e32 v11, v8
	s_andn2_b64 exec, exec, s[6:7]
	s_cbranch_execnz .LBB8_18
; %bb.19:                               ;   in Loop: Header=BB8_5 Depth=1
	s_or_b64 exec, exec, s[6:7]
	v_add_u32_e32 v0, 14, v17
	v_and_b32_e32 v2, 2, v0
	v_sub_co_u32_e32 v0, vcc, 0, v2
	v_subb_co_u32_e64 v1, s[0:1], 0, 0, vcc
	v_add_co_u32_e32 v0, vcc, v17, v0
	v_addc_co_u32_e32 v1, vcc, v5, v1, vcc
	global_load_dword v11, v[0:1], off offset:14
	s_mov_b64 s[6:7], 0
	v_cmp_eq_u32_e64 s[0:1], 0, v2
	v_and_b32_e32 v2, 0xffff0000, v3
.LBB8_20:                               ;   Parent Loop BB8_5 Depth=1
                                        ; =>  This Inner Loop Header: Depth=2
	s_mov_b64 vcc, s[0:1]
	s_waitcnt vmcnt(0)
	v_and_b32_e32 v3, 0xffff, v11
	v_cndmask_b32_sdwa v5, v11, v3, vcc dst_sel:WORD_1 dst_unused:UNUSED_PAD src0_sel:WORD_1 src1_sel:DWORD
	v_add_f32_e32 v5, v2, v5
	v_bfe_u32 v8, v5, 16, 1
	v_cmp_o_f32_e32 vcc, v5, v5
	v_add3_u32 v5, v5, v8, s13
	v_cndmask_b32_sdwa v5, v16, v5, vcc dst_sel:DWORD dst_unused:UNUSED_PAD src0_sel:DWORD src1_sel:WORD_1
	v_lshl_or_b32 v3, v5, 16, v3
	v_and_or_b32 v5, v11, s14, v5
	v_cndmask_b32_e64 v10, v3, v5, s[0:1]
	global_atomic_cmpswap v3, v[0:1], v[10:11], off offset:14 glc
	s_waitcnt vmcnt(0)
	v_cmp_eq_u32_e32 vcc, v11, v3
	s_or_b64 s[6:7], vcc, s[6:7]
	v_mov_b32_e32 v11, v3
	s_andn2_b64 exec, exec, s[6:7]
	s_cbranch_execnz .LBB8_20
; %bb.21:                               ;   in Loop: Header=BB8_5 Depth=1
	s_or_b64 exec, exec, s[6:7]
	v_add_u32_e32 v4, s12, v4
	v_ashrrev_i32_e32 v5, 31, v4
	v_cmp_le_i64_e32 vcc, s[8:9], v[4:5]
	s_or_b64 s[4:5], vcc, s[4:5]
	s_andn2_b64 exec, exec, s[4:5]
	s_cbranch_execnz .LBB8_5
.LBB8_22:
	s_or_b64 exec, exec, s[16:17]
	s_orn2_b64 s[8:9], s[10:11], exec
.LBB8_23:
	s_or_b64 exec, exec, s[2:3]
	s_and_b64 exec, exec, s[8:9]
	s_cbranch_execnz .LBB8_25
.LBB8_24:
	s_endpgm
.LBB8_25:
	s_trap 2
	; divergent unreachable
	s_endpgm
	.section	.rodata,"a",@progbits
	.p2align	6, 0x0
	.amdhsa_kernel _ZN2at6native29vectorized_scatter_add_kernelILi16EN3c108BFloat16ElEEvPT0_PKS4_PKT1_illllii
		.amdhsa_group_segment_fixed_size 0
		.amdhsa_private_segment_fixed_size 0
		.amdhsa_kernarg_size 328
		.amdhsa_user_sgpr_count 6
		.amdhsa_user_sgpr_private_segment_buffer 1
		.amdhsa_user_sgpr_dispatch_ptr 0
		.amdhsa_user_sgpr_queue_ptr 0
		.amdhsa_user_sgpr_kernarg_segment_ptr 1
		.amdhsa_user_sgpr_dispatch_id 0
		.amdhsa_user_sgpr_flat_scratch_init 0
		.amdhsa_user_sgpr_private_segment_size 0
		.amdhsa_uses_dynamic_stack 0
		.amdhsa_system_sgpr_private_segment_wavefront_offset 0
		.amdhsa_system_sgpr_workgroup_id_x 1
		.amdhsa_system_sgpr_workgroup_id_y 1
		.amdhsa_system_sgpr_workgroup_id_z 0
		.amdhsa_system_sgpr_workgroup_info 0
		.amdhsa_system_vgpr_workitem_id 0
		.amdhsa_next_free_vgpr 20
		.amdhsa_next_free_sgpr 24
		.amdhsa_reserve_vcc 1
		.amdhsa_reserve_flat_scratch 0
		.amdhsa_float_round_mode_32 0
		.amdhsa_float_round_mode_16_64 0
		.amdhsa_float_denorm_mode_32 3
		.amdhsa_float_denorm_mode_16_64 3
		.amdhsa_dx10_clamp 1
		.amdhsa_ieee_mode 1
		.amdhsa_fp16_overflow 0
		.amdhsa_exception_fp_ieee_invalid_op 0
		.amdhsa_exception_fp_denorm_src 0
		.amdhsa_exception_fp_ieee_div_zero 0
		.amdhsa_exception_fp_ieee_overflow 0
		.amdhsa_exception_fp_ieee_underflow 0
		.amdhsa_exception_fp_ieee_inexact 0
		.amdhsa_exception_int_div_zero 0
	.end_amdhsa_kernel
	.section	.text._ZN2at6native29vectorized_scatter_add_kernelILi16EN3c108BFloat16ElEEvPT0_PKS4_PKT1_illllii,"axG",@progbits,_ZN2at6native29vectorized_scatter_add_kernelILi16EN3c108BFloat16ElEEvPT0_PKS4_PKT1_illllii,comdat
.Lfunc_end8:
	.size	_ZN2at6native29vectorized_scatter_add_kernelILi16EN3c108BFloat16ElEEvPT0_PKS4_PKT1_illllii, .Lfunc_end8-_ZN2at6native29vectorized_scatter_add_kernelILi16EN3c108BFloat16ElEEvPT0_PKS4_PKT1_illllii
                                        ; -- End function
	.set _ZN2at6native29vectorized_scatter_add_kernelILi16EN3c108BFloat16ElEEvPT0_PKS4_PKT1_illllii.num_vgpr, 20
	.set _ZN2at6native29vectorized_scatter_add_kernelILi16EN3c108BFloat16ElEEvPT0_PKS4_PKT1_illllii.num_agpr, 0
	.set _ZN2at6native29vectorized_scatter_add_kernelILi16EN3c108BFloat16ElEEvPT0_PKS4_PKT1_illllii.numbered_sgpr, 24
	.set _ZN2at6native29vectorized_scatter_add_kernelILi16EN3c108BFloat16ElEEvPT0_PKS4_PKT1_illllii.num_named_barrier, 0
	.set _ZN2at6native29vectorized_scatter_add_kernelILi16EN3c108BFloat16ElEEvPT0_PKS4_PKT1_illllii.private_seg_size, 0
	.set _ZN2at6native29vectorized_scatter_add_kernelILi16EN3c108BFloat16ElEEvPT0_PKS4_PKT1_illllii.uses_vcc, 1
	.set _ZN2at6native29vectorized_scatter_add_kernelILi16EN3c108BFloat16ElEEvPT0_PKS4_PKT1_illllii.uses_flat_scratch, 0
	.set _ZN2at6native29vectorized_scatter_add_kernelILi16EN3c108BFloat16ElEEvPT0_PKS4_PKT1_illllii.has_dyn_sized_stack, 0
	.set _ZN2at6native29vectorized_scatter_add_kernelILi16EN3c108BFloat16ElEEvPT0_PKS4_PKT1_illllii.has_recursion, 0
	.set _ZN2at6native29vectorized_scatter_add_kernelILi16EN3c108BFloat16ElEEvPT0_PKS4_PKT1_illllii.has_indirect_call, 0
	.section	.AMDGPU.csdata,"",@progbits
; Kernel info:
; codeLenInByte = 1884
; TotalNumSgprs: 28
; NumVgprs: 20
; ScratchSize: 0
; MemoryBound: 0
; FloatMode: 240
; IeeeMode: 1
; LDSByteSize: 0 bytes/workgroup (compile time only)
; SGPRBlocks: 3
; VGPRBlocks: 4
; NumSGPRsForWavesPerEU: 28
; NumVGPRsForWavesPerEU: 20
; Occupancy: 10
; WaveLimiterHint : 1
; COMPUTE_PGM_RSRC2:SCRATCH_EN: 0
; COMPUTE_PGM_RSRC2:USER_SGPR: 6
; COMPUTE_PGM_RSRC2:TRAP_HANDLER: 0
; COMPUTE_PGM_RSRC2:TGID_X_EN: 1
; COMPUTE_PGM_RSRC2:TGID_Y_EN: 1
; COMPUTE_PGM_RSRC2:TGID_Z_EN: 0
; COMPUTE_PGM_RSRC2:TIDIG_COMP_CNT: 0
	.section	.text._ZN2at6native29vectorized_scatter_add_kernelILi16EN3c108BFloat16EiEEvPT0_PKS4_PKT1_illllii,"axG",@progbits,_ZN2at6native29vectorized_scatter_add_kernelILi16EN3c108BFloat16EiEEvPT0_PKS4_PKT1_illllii,comdat
	.protected	_ZN2at6native29vectorized_scatter_add_kernelILi16EN3c108BFloat16EiEEvPT0_PKS4_PKT1_illllii ; -- Begin function _ZN2at6native29vectorized_scatter_add_kernelILi16EN3c108BFloat16EiEEvPT0_PKS4_PKT1_illllii
	.globl	_ZN2at6native29vectorized_scatter_add_kernelILi16EN3c108BFloat16EiEEvPT0_PKS4_PKT1_illllii
	.p2align	8
	.type	_ZN2at6native29vectorized_scatter_add_kernelILi16EN3c108BFloat16EiEEvPT0_PKS4_PKT1_illllii,@function
_ZN2at6native29vectorized_scatter_add_kernelILi16EN3c108BFloat16EiEEvPT0_PKS4_PKT1_illllii: ; @_ZN2at6native29vectorized_scatter_add_kernelILi16EN3c108BFloat16EiEEvPT0_PKS4_PKT1_illllii
; %bb.0:
	s_load_dwordx2 s[0:1], s[4:5], 0x40
	s_waitcnt lgkmcnt(0)
	v_cvt_f32_u32_e32 v1, s0
	s_sub_i32 s2, 0, s0
	s_mul_i32 s1, s1, s6
	v_rcp_iflag_f32_e32 v1, v1
	v_mul_f32_e32 v1, 0x4f7ffffe, v1
	v_cvt_u32_f32_e32 v1, v1
	v_mul_lo_u32 v2, s2, v1
	s_load_dword s2, s[4:5], 0x18
	v_mul_hi_u32 v2, v1, v2
	v_add_u32_e32 v1, v1, v2
	v_mul_hi_u32 v1, v0, v1
	v_mul_lo_u32 v2, v1, s0
	v_add_u32_e32 v3, 1, v1
	v_sub_u32_e32 v2, v0, v2
	v_cmp_le_u32_e32 vcc, s0, v2
	v_cndmask_b32_e32 v1, v1, v3, vcc
	v_subrev_u32_e32 v3, s0, v2
	v_cndmask_b32_e32 v2, v2, v3, vcc
	v_add_u32_e32 v3, 1, v1
	v_cmp_le_u32_e32 vcc, s0, v2
	v_cndmask_b32_e32 v4, v1, v3, vcc
	v_add_u32_e32 v1, s1, v4
	s_waitcnt lgkmcnt(0)
	v_cmp_gt_i32_e32 vcc, s2, v1
	s_and_saveexec_b64 s[2:3], vcc
	s_cbranch_execz .LBB9_24
; %bb.1:
	s_load_dwordx2 s[2:3], s[4:5], 0x10
	v_ashrrev_i32_e32 v2, 31, v1
	v_lshlrev_b64 v[2:3], 2, v[1:2]
	s_mov_b64 s[8:9], -1
	s_waitcnt lgkmcnt(0)
	v_mov_b32_e32 v5, s3
	v_add_co_u32_e32 v2, vcc, s2, v2
	v_addc_co_u32_e32 v3, vcc, v5, v3, vcc
	global_load_dword v2, v[2:3], off
	s_waitcnt vmcnt(0)
	v_cmp_lt_i32_e32 vcc, -1, v2
	s_and_saveexec_b64 s[2:3], vcc
	s_cbranch_execz .LBB9_23
; %bb.2:
	s_load_dwordx8 s[8:15], s[4:5], 0x20
	v_ashrrev_i32_e32 v3, 31, v2
	s_getpc_b64 s[16:17]
	s_add_u32 s16, s16, .str.1@rel32@lo+4
	s_addc_u32 s17, s17, .str.1@rel32@hi+12
	s_cmp_eq_u64 s[16:17], 0
	s_waitcnt lgkmcnt(0)
	v_cmp_le_i64_e32 vcc, s[10:11], v[2:3]
	s_cselect_b64 s[10:11], -1, 0
	s_or_b64 s[10:11], vcc, s[10:11]
	s_xor_b64 s[18:19], s[10:11], -1
	s_and_saveexec_b64 s[16:17], s[18:19]
	s_cbranch_execz .LBB9_22
; %bb.3:
	v_sub_u32_e32 v4, s7, v4
	v_mul_lo_u32 v4, v4, s0
	v_add_lshl_u32 v4, v4, v0, 4
	v_ashrrev_i32_e32 v5, 31, v4
	v_cmp_gt_i64_e32 vcc, s[8:9], v[4:5]
	s_and_b64 exec, exec, vcc
	s_cbranch_execz .LBB9_22
; %bb.4:
	s_load_dwordx4 s[20:23], s[4:5], 0x0
	s_load_dword s1, s[4:5], 0x4c
	v_mul_lo_u32 v9, v1, s14
	v_mul_lo_u32 v3, s12, v3
	;; [unrolled: 1-line block ×3, first 2 shown]
	s_waitcnt lgkmcnt(0)
	v_mov_b32_e32 v0, s20
	v_mov_b32_e32 v1, s21
	v_mad_u64_u32 v[6:7], s[4:5], s12, v2, v[0:1]
	v_ashrrev_i32_e32 v0, 31, v9
	v_mov_b32_e32 v1, s23
	v_add_co_u32_e32 v14, vcc, s22, v9
	s_mul_i32 s0, s0, s1
	v_add3_u32 v7, v8, v7, v3
	v_addc_co_u32_e32 v15, vcc, v1, v0, vcc
	s_lshl_b32 s12, s0, 4
	s_mov_b64 s[4:5], 0
	v_mov_b32_e32 v9, 0
	s_movk_i32 s13, 0x7fff
	s_mov_b32 s14, 0xffff0000
	v_mov_b32_e32 v16, 0x7fc0
.LBB9_5:                                ; =>This Loop Header: Depth=1
                                        ;     Child Loop BB9_6 Depth 2
                                        ;     Child Loop BB9_8 Depth 2
	;; [unrolled: 1-line block ×8, first 2 shown]
	v_add_co_u32_e32 v0, vcc, v14, v4
	v_addc_co_u32_e32 v1, vcc, v15, v5, vcc
	v_add_co_u32_e32 v17, vcc, v6, v4
	v_addc_co_u32_e32 v5, vcc, v7, v5, vcc
	v_and_b32_e32 v8, 2, v17
	v_sub_co_u32_e32 v10, vcc, 0, v8
	v_subb_co_u32_e64 v11, s[0:1], 0, 0, vcc
	v_add_co_u32_e32 v10, vcc, v17, v10
	global_load_dwordx4 v[0:3], v[0:1], off
	v_addc_co_u32_e32 v11, vcc, v5, v11, vcc
	global_load_dword v13, v[10:11], off
	v_cmp_eq_u64_e64 s[0:1], 0, v[8:9]
	s_mov_b64 s[6:7], 0
	s_waitcnt vmcnt(1)
	v_lshlrev_b32_e32 v8, 16, v0
.LBB9_6:                                ;   Parent Loop BB9_5 Depth=1
                                        ; =>  This Inner Loop Header: Depth=2
	s_mov_b64 vcc, s[0:1]
	s_waitcnt vmcnt(0)
	v_and_b32_e32 v12, 0xffff, v13
	v_cndmask_b32_sdwa v18, v13, v12, vcc dst_sel:WORD_1 dst_unused:UNUSED_PAD src0_sel:WORD_1 src1_sel:DWORD
	v_add_f32_e32 v18, v8, v18
	v_bfe_u32 v19, v18, 16, 1
	v_cmp_o_f32_e32 vcc, v18, v18
	v_add3_u32 v18, v18, v19, s13
	v_cndmask_b32_sdwa v18, v16, v18, vcc dst_sel:DWORD dst_unused:UNUSED_PAD src0_sel:DWORD src1_sel:WORD_1
	v_lshl_or_b32 v12, v18, 16, v12
	v_and_or_b32 v18, v13, s14, v18
	v_cndmask_b32_e64 v12, v12, v18, s[0:1]
	global_atomic_cmpswap v12, v[10:11], v[12:13], off glc
	s_waitcnt vmcnt(0)
	v_cmp_eq_u32_e32 vcc, v13, v12
	s_or_b64 s[6:7], vcc, s[6:7]
	v_mov_b32_e32 v13, v12
	s_andn2_b64 exec, exec, s[6:7]
	s_cbranch_execnz .LBB9_6
; %bb.7:                                ;   in Loop: Header=BB9_5 Depth=1
	s_or_b64 exec, exec, s[6:7]
	v_add_u32_e32 v8, 2, v17
	v_and_b32_e32 v12, 2, v8
	v_sub_co_u32_e32 v8, vcc, 0, v12
	v_subb_co_u32_e64 v11, s[0:1], 0, 0, vcc
	v_add_co_u32_e32 v10, vcc, v17, v8
	v_addc_co_u32_e32 v11, vcc, v5, v11, vcc
	global_load_dword v13, v[10:11], off offset:2
	v_and_b32_e32 v8, 0xffff0000, v0
	s_mov_b64 s[6:7], 0
	v_cmp_eq_u32_e64 s[0:1], 0, v12
.LBB9_8:                                ;   Parent Loop BB9_5 Depth=1
                                        ; =>  This Inner Loop Header: Depth=2
	s_mov_b64 vcc, s[0:1]
	s_waitcnt vmcnt(0)
	v_and_b32_e32 v12, 0xffff, v13
	v_cndmask_b32_sdwa v18, v13, v12, vcc dst_sel:WORD_1 dst_unused:UNUSED_PAD src0_sel:WORD_1 src1_sel:DWORD
	v_add_f32_e32 v18, v8, v18
	v_bfe_u32 v19, v18, 16, 1
	v_cmp_o_f32_e32 vcc, v18, v18
	v_add3_u32 v18, v18, v19, s13
	v_cndmask_b32_sdwa v18, v16, v18, vcc dst_sel:DWORD dst_unused:UNUSED_PAD src0_sel:DWORD src1_sel:WORD_1
	v_lshl_or_b32 v12, v18, 16, v12
	v_and_or_b32 v18, v13, s14, v18
	v_cndmask_b32_e64 v12, v12, v18, s[0:1]
	global_atomic_cmpswap v12, v[10:11], v[12:13], off offset:2 glc
	s_waitcnt vmcnt(0)
	v_cmp_eq_u32_e32 vcc, v13, v12
	s_or_b64 s[6:7], vcc, s[6:7]
	v_mov_b32_e32 v13, v12
	s_andn2_b64 exec, exec, s[6:7]
	s_cbranch_execnz .LBB9_8
; %bb.9:                                ;   in Loop: Header=BB9_5 Depth=1
	s_or_b64 exec, exec, s[6:7]
	v_add_u32_e32 v8, 4, v17
	v_and_b32_e32 v8, 2, v8
	v_sub_co_u32_e32 v10, vcc, 0, v8
	v_subb_co_u32_e64 v11, s[0:1], 0, 0, vcc
	v_add_co_u32_e32 v10, vcc, v17, v10
	v_addc_co_u32_e32 v11, vcc, v5, v11, vcc
	global_load_dword v13, v[10:11], off offset:4
	v_alignbit_b32 v0, v1, v0, 16
	s_mov_b64 s[6:7], 0
	v_cmp_eq_u32_e64 s[0:1], 0, v8
	v_and_b32_e32 v0, 0xffff0000, v0
.LBB9_10:                               ;   Parent Loop BB9_5 Depth=1
                                        ; =>  This Inner Loop Header: Depth=2
	s_mov_b64 vcc, s[0:1]
	s_waitcnt vmcnt(0)
	v_and_b32_e32 v8, 0xffff, v13
	v_cndmask_b32_sdwa v12, v13, v8, vcc dst_sel:WORD_1 dst_unused:UNUSED_PAD src0_sel:WORD_1 src1_sel:DWORD
	v_add_f32_e32 v12, v0, v12
	v_bfe_u32 v18, v12, 16, 1
	v_cmp_o_f32_e32 vcc, v12, v12
	v_add3_u32 v12, v12, v18, s13
	v_cndmask_b32_sdwa v12, v16, v12, vcc dst_sel:DWORD dst_unused:UNUSED_PAD src0_sel:DWORD src1_sel:WORD_1
	v_lshl_or_b32 v8, v12, 16, v8
	v_and_or_b32 v12, v13, s14, v12
	v_cndmask_b32_e64 v12, v8, v12, s[0:1]
	global_atomic_cmpswap v8, v[10:11], v[12:13], off offset:4 glc
	s_waitcnt vmcnt(0)
	v_cmp_eq_u32_e32 vcc, v13, v8
	s_or_b64 s[6:7], vcc, s[6:7]
	v_mov_b32_e32 v13, v8
	s_andn2_b64 exec, exec, s[6:7]
	s_cbranch_execnz .LBB9_10
; %bb.11:                               ;   in Loop: Header=BB9_5 Depth=1
	s_or_b64 exec, exec, s[6:7]
	v_add_u32_e32 v0, 6, v17
	v_and_b32_e32 v0, 2, v0
	v_sub_co_u32_e32 v8, vcc, 0, v0
	v_subb_co_u32_e64 v11, s[0:1], 0, 0, vcc
	v_add_co_u32_e32 v10, vcc, v17, v8
	v_addc_co_u32_e32 v11, vcc, v5, v11, vcc
	global_load_dword v13, v[10:11], off offset:6
	s_mov_b64 s[6:7], 0
	v_cmp_eq_u32_e64 s[0:1], 0, v0
	v_and_b32_e32 v0, 0xffff0000, v1
.LBB9_12:                               ;   Parent Loop BB9_5 Depth=1
                                        ; =>  This Inner Loop Header: Depth=2
	s_mov_b64 vcc, s[0:1]
	s_waitcnt vmcnt(0)
	v_and_b32_e32 v1, 0xffff, v13
	v_cndmask_b32_sdwa v8, v13, v1, vcc dst_sel:WORD_1 dst_unused:UNUSED_PAD src0_sel:WORD_1 src1_sel:DWORD
	v_add_f32_e32 v8, v0, v8
	v_bfe_u32 v12, v8, 16, 1
	v_cmp_o_f32_e32 vcc, v8, v8
	v_add3_u32 v8, v8, v12, s13
	v_cndmask_b32_sdwa v8, v16, v8, vcc dst_sel:DWORD dst_unused:UNUSED_PAD src0_sel:DWORD src1_sel:WORD_1
	v_lshl_or_b32 v1, v8, 16, v1
	v_and_or_b32 v8, v13, s14, v8
	v_cndmask_b32_e64 v12, v1, v8, s[0:1]
	global_atomic_cmpswap v1, v[10:11], v[12:13], off offset:6 glc
	s_waitcnt vmcnt(0)
	v_cmp_eq_u32_e32 vcc, v13, v1
	s_or_b64 s[6:7], vcc, s[6:7]
	v_mov_b32_e32 v13, v1
	s_andn2_b64 exec, exec, s[6:7]
	s_cbranch_execnz .LBB9_12
; %bb.13:                               ;   in Loop: Header=BB9_5 Depth=1
	s_or_b64 exec, exec, s[6:7]
	v_add_u32_e32 v0, 8, v17
	v_and_b32_e32 v8, 2, v0
	v_sub_co_u32_e32 v0, vcc, 0, v8
	v_subb_co_u32_e64 v1, s[0:1], 0, 0, vcc
	v_add_co_u32_e32 v0, vcc, v17, v0
	v_addc_co_u32_e32 v1, vcc, v5, v1, vcc
	global_load_dword v11, v[0:1], off offset:8
	s_mov_b64 s[6:7], 0
	v_cmp_eq_u32_e64 s[0:1], 0, v8
	v_lshlrev_b32_e32 v8, 16, v2
.LBB9_14:                               ;   Parent Loop BB9_5 Depth=1
                                        ; =>  This Inner Loop Header: Depth=2
	s_mov_b64 vcc, s[0:1]
	s_waitcnt vmcnt(0)
	v_and_b32_e32 v10, 0xffff, v11
	v_cndmask_b32_sdwa v12, v11, v10, vcc dst_sel:WORD_1 dst_unused:UNUSED_PAD src0_sel:WORD_1 src1_sel:DWORD
	v_add_f32_e32 v12, v8, v12
	v_bfe_u32 v13, v12, 16, 1
	v_cmp_o_f32_e32 vcc, v12, v12
	v_add3_u32 v12, v12, v13, s13
	v_cndmask_b32_sdwa v12, v16, v12, vcc dst_sel:DWORD dst_unused:UNUSED_PAD src0_sel:DWORD src1_sel:WORD_1
	v_lshl_or_b32 v10, v12, 16, v10
	v_and_or_b32 v12, v11, s14, v12
	v_cndmask_b32_e64 v10, v10, v12, s[0:1]
	global_atomic_cmpswap v10, v[0:1], v[10:11], off offset:8 glc
	s_waitcnt vmcnt(0)
	v_cmp_eq_u32_e32 vcc, v11, v10
	s_or_b64 s[6:7], vcc, s[6:7]
	v_mov_b32_e32 v11, v10
	s_andn2_b64 exec, exec, s[6:7]
	s_cbranch_execnz .LBB9_14
; %bb.15:                               ;   in Loop: Header=BB9_5 Depth=1
	s_or_b64 exec, exec, s[6:7]
	v_add_u32_e32 v0, 10, v17
	v_and_b32_e32 v10, 2, v0
	v_sub_co_u32_e32 v0, vcc, 0, v10
	v_subb_co_u32_e64 v1, s[0:1], 0, 0, vcc
	v_add_co_u32_e32 v0, vcc, v17, v0
	v_addc_co_u32_e32 v1, vcc, v5, v1, vcc
	global_load_dword v11, v[0:1], off offset:10
	v_and_b32_e32 v8, 0xffff0000, v2
	s_mov_b64 s[6:7], 0
	v_cmp_eq_u32_e64 s[0:1], 0, v10
.LBB9_16:                               ;   Parent Loop BB9_5 Depth=1
                                        ; =>  This Inner Loop Header: Depth=2
	s_mov_b64 vcc, s[0:1]
	s_waitcnt vmcnt(0)
	v_and_b32_e32 v10, 0xffff, v11
	v_cndmask_b32_sdwa v12, v11, v10, vcc dst_sel:WORD_1 dst_unused:UNUSED_PAD src0_sel:WORD_1 src1_sel:DWORD
	v_add_f32_e32 v12, v8, v12
	v_bfe_u32 v13, v12, 16, 1
	v_cmp_o_f32_e32 vcc, v12, v12
	v_add3_u32 v12, v12, v13, s13
	v_cndmask_b32_sdwa v12, v16, v12, vcc dst_sel:DWORD dst_unused:UNUSED_PAD src0_sel:DWORD src1_sel:WORD_1
	v_lshl_or_b32 v10, v12, 16, v10
	v_and_or_b32 v12, v11, s14, v12
	v_cndmask_b32_e64 v10, v10, v12, s[0:1]
	global_atomic_cmpswap v10, v[0:1], v[10:11], off offset:10 glc
	s_waitcnt vmcnt(0)
	v_cmp_eq_u32_e32 vcc, v11, v10
	s_or_b64 s[6:7], vcc, s[6:7]
	v_mov_b32_e32 v11, v10
	s_andn2_b64 exec, exec, s[6:7]
	s_cbranch_execnz .LBB9_16
; %bb.17:                               ;   in Loop: Header=BB9_5 Depth=1
	s_or_b64 exec, exec, s[6:7]
	v_add_u32_e32 v0, 12, v17
	v_and_b32_e32 v8, 2, v0
	v_sub_co_u32_e32 v0, vcc, 0, v8
	v_subb_co_u32_e64 v1, s[0:1], 0, 0, vcc
	v_add_co_u32_e32 v0, vcc, v17, v0
	v_addc_co_u32_e32 v1, vcc, v5, v1, vcc
	global_load_dword v11, v[0:1], off offset:12
	v_alignbit_b32 v2, v3, v2, 16
	s_mov_b64 s[6:7], 0
	v_cmp_eq_u32_e64 s[0:1], 0, v8
	v_and_b32_e32 v2, 0xffff0000, v2
.LBB9_18:                               ;   Parent Loop BB9_5 Depth=1
                                        ; =>  This Inner Loop Header: Depth=2
	s_mov_b64 vcc, s[0:1]
	s_waitcnt vmcnt(0)
	v_and_b32_e32 v8, 0xffff, v11
	v_cndmask_b32_sdwa v10, v11, v8, vcc dst_sel:WORD_1 dst_unused:UNUSED_PAD src0_sel:WORD_1 src1_sel:DWORD
	v_add_f32_e32 v10, v2, v10
	v_bfe_u32 v12, v10, 16, 1
	v_cmp_o_f32_e32 vcc, v10, v10
	v_add3_u32 v10, v10, v12, s13
	v_cndmask_b32_sdwa v10, v16, v10, vcc dst_sel:DWORD dst_unused:UNUSED_PAD src0_sel:DWORD src1_sel:WORD_1
	v_lshl_or_b32 v8, v10, 16, v8
	v_and_or_b32 v10, v11, s14, v10
	v_cndmask_b32_e64 v10, v8, v10, s[0:1]
	global_atomic_cmpswap v8, v[0:1], v[10:11], off offset:12 glc
	s_waitcnt vmcnt(0)
	v_cmp_eq_u32_e32 vcc, v11, v8
	s_or_b64 s[6:7], vcc, s[6:7]
	v_mov_b32_e32 v11, v8
	s_andn2_b64 exec, exec, s[6:7]
	s_cbranch_execnz .LBB9_18
; %bb.19:                               ;   in Loop: Header=BB9_5 Depth=1
	s_or_b64 exec, exec, s[6:7]
	v_add_u32_e32 v0, 14, v17
	v_and_b32_e32 v2, 2, v0
	v_sub_co_u32_e32 v0, vcc, 0, v2
	v_subb_co_u32_e64 v1, s[0:1], 0, 0, vcc
	v_add_co_u32_e32 v0, vcc, v17, v0
	v_addc_co_u32_e32 v1, vcc, v5, v1, vcc
	global_load_dword v11, v[0:1], off offset:14
	s_mov_b64 s[6:7], 0
	v_cmp_eq_u32_e64 s[0:1], 0, v2
	v_and_b32_e32 v2, 0xffff0000, v3
.LBB9_20:                               ;   Parent Loop BB9_5 Depth=1
                                        ; =>  This Inner Loop Header: Depth=2
	s_mov_b64 vcc, s[0:1]
	s_waitcnt vmcnt(0)
	v_and_b32_e32 v3, 0xffff, v11
	v_cndmask_b32_sdwa v5, v11, v3, vcc dst_sel:WORD_1 dst_unused:UNUSED_PAD src0_sel:WORD_1 src1_sel:DWORD
	v_add_f32_e32 v5, v2, v5
	v_bfe_u32 v8, v5, 16, 1
	v_cmp_o_f32_e32 vcc, v5, v5
	v_add3_u32 v5, v5, v8, s13
	v_cndmask_b32_sdwa v5, v16, v5, vcc dst_sel:DWORD dst_unused:UNUSED_PAD src0_sel:DWORD src1_sel:WORD_1
	v_lshl_or_b32 v3, v5, 16, v3
	v_and_or_b32 v5, v11, s14, v5
	v_cndmask_b32_e64 v10, v3, v5, s[0:1]
	global_atomic_cmpswap v3, v[0:1], v[10:11], off offset:14 glc
	s_waitcnt vmcnt(0)
	v_cmp_eq_u32_e32 vcc, v11, v3
	s_or_b64 s[6:7], vcc, s[6:7]
	v_mov_b32_e32 v11, v3
	s_andn2_b64 exec, exec, s[6:7]
	s_cbranch_execnz .LBB9_20
; %bb.21:                               ;   in Loop: Header=BB9_5 Depth=1
	s_or_b64 exec, exec, s[6:7]
	v_add_u32_e32 v4, s12, v4
	v_ashrrev_i32_e32 v5, 31, v4
	v_cmp_le_i64_e32 vcc, s[8:9], v[4:5]
	s_or_b64 s[4:5], vcc, s[4:5]
	s_andn2_b64 exec, exec, s[4:5]
	s_cbranch_execnz .LBB9_5
.LBB9_22:
	s_or_b64 exec, exec, s[16:17]
	s_orn2_b64 s[8:9], s[10:11], exec
.LBB9_23:
	s_or_b64 exec, exec, s[2:3]
	s_and_b64 exec, exec, s[8:9]
	s_cbranch_execnz .LBB9_25
.LBB9_24:
	s_endpgm
.LBB9_25:
	s_trap 2
	; divergent unreachable
	s_endpgm
	.section	.rodata,"a",@progbits
	.p2align	6, 0x0
	.amdhsa_kernel _ZN2at6native29vectorized_scatter_add_kernelILi16EN3c108BFloat16EiEEvPT0_PKS4_PKT1_illllii
		.amdhsa_group_segment_fixed_size 0
		.amdhsa_private_segment_fixed_size 0
		.amdhsa_kernarg_size 328
		.amdhsa_user_sgpr_count 6
		.amdhsa_user_sgpr_private_segment_buffer 1
		.amdhsa_user_sgpr_dispatch_ptr 0
		.amdhsa_user_sgpr_queue_ptr 0
		.amdhsa_user_sgpr_kernarg_segment_ptr 1
		.amdhsa_user_sgpr_dispatch_id 0
		.amdhsa_user_sgpr_flat_scratch_init 0
		.amdhsa_user_sgpr_private_segment_size 0
		.amdhsa_uses_dynamic_stack 0
		.amdhsa_system_sgpr_private_segment_wavefront_offset 0
		.amdhsa_system_sgpr_workgroup_id_x 1
		.amdhsa_system_sgpr_workgroup_id_y 1
		.amdhsa_system_sgpr_workgroup_id_z 0
		.amdhsa_system_sgpr_workgroup_info 0
		.amdhsa_system_vgpr_workitem_id 0
		.amdhsa_next_free_vgpr 20
		.amdhsa_next_free_sgpr 24
		.amdhsa_reserve_vcc 1
		.amdhsa_reserve_flat_scratch 0
		.amdhsa_float_round_mode_32 0
		.amdhsa_float_round_mode_16_64 0
		.amdhsa_float_denorm_mode_32 3
		.amdhsa_float_denorm_mode_16_64 3
		.amdhsa_dx10_clamp 1
		.amdhsa_ieee_mode 1
		.amdhsa_fp16_overflow 0
		.amdhsa_exception_fp_ieee_invalid_op 0
		.amdhsa_exception_fp_denorm_src 0
		.amdhsa_exception_fp_ieee_div_zero 0
		.amdhsa_exception_fp_ieee_overflow 0
		.amdhsa_exception_fp_ieee_underflow 0
		.amdhsa_exception_fp_ieee_inexact 0
		.amdhsa_exception_int_div_zero 0
	.end_amdhsa_kernel
	.section	.text._ZN2at6native29vectorized_scatter_add_kernelILi16EN3c108BFloat16EiEEvPT0_PKS4_PKT1_illllii,"axG",@progbits,_ZN2at6native29vectorized_scatter_add_kernelILi16EN3c108BFloat16EiEEvPT0_PKS4_PKT1_illllii,comdat
.Lfunc_end9:
	.size	_ZN2at6native29vectorized_scatter_add_kernelILi16EN3c108BFloat16EiEEvPT0_PKS4_PKT1_illllii, .Lfunc_end9-_ZN2at6native29vectorized_scatter_add_kernelILi16EN3c108BFloat16EiEEvPT0_PKS4_PKT1_illllii
                                        ; -- End function
	.set _ZN2at6native29vectorized_scatter_add_kernelILi16EN3c108BFloat16EiEEvPT0_PKS4_PKT1_illllii.num_vgpr, 20
	.set _ZN2at6native29vectorized_scatter_add_kernelILi16EN3c108BFloat16EiEEvPT0_PKS4_PKT1_illllii.num_agpr, 0
	.set _ZN2at6native29vectorized_scatter_add_kernelILi16EN3c108BFloat16EiEEvPT0_PKS4_PKT1_illllii.numbered_sgpr, 24
	.set _ZN2at6native29vectorized_scatter_add_kernelILi16EN3c108BFloat16EiEEvPT0_PKS4_PKT1_illllii.num_named_barrier, 0
	.set _ZN2at6native29vectorized_scatter_add_kernelILi16EN3c108BFloat16EiEEvPT0_PKS4_PKT1_illllii.private_seg_size, 0
	.set _ZN2at6native29vectorized_scatter_add_kernelILi16EN3c108BFloat16EiEEvPT0_PKS4_PKT1_illllii.uses_vcc, 1
	.set _ZN2at6native29vectorized_scatter_add_kernelILi16EN3c108BFloat16EiEEvPT0_PKS4_PKT1_illllii.uses_flat_scratch, 0
	.set _ZN2at6native29vectorized_scatter_add_kernelILi16EN3c108BFloat16EiEEvPT0_PKS4_PKT1_illllii.has_dyn_sized_stack, 0
	.set _ZN2at6native29vectorized_scatter_add_kernelILi16EN3c108BFloat16EiEEvPT0_PKS4_PKT1_illllii.has_recursion, 0
	.set _ZN2at6native29vectorized_scatter_add_kernelILi16EN3c108BFloat16EiEEvPT0_PKS4_PKT1_illllii.has_indirect_call, 0
	.section	.AMDGPU.csdata,"",@progbits
; Kernel info:
; codeLenInByte = 1888
; TotalNumSgprs: 28
; NumVgprs: 20
; ScratchSize: 0
; MemoryBound: 0
; FloatMode: 240
; IeeeMode: 1
; LDSByteSize: 0 bytes/workgroup (compile time only)
; SGPRBlocks: 3
; VGPRBlocks: 4
; NumSGPRsForWavesPerEU: 28
; NumVGPRsForWavesPerEU: 20
; Occupancy: 10
; WaveLimiterHint : 1
; COMPUTE_PGM_RSRC2:SCRATCH_EN: 0
; COMPUTE_PGM_RSRC2:USER_SGPR: 6
; COMPUTE_PGM_RSRC2:TRAP_HANDLER: 0
; COMPUTE_PGM_RSRC2:TGID_X_EN: 1
; COMPUTE_PGM_RSRC2:TGID_Y_EN: 1
; COMPUTE_PGM_RSRC2:TGID_Z_EN: 0
; COMPUTE_PGM_RSRC2:TIDIG_COMP_CNT: 0
	.section	.AMDGPU.gpr_maximums,"",@progbits
	.set amdgpu.max_num_vgpr, 0
	.set amdgpu.max_num_agpr, 0
	.set amdgpu.max_num_sgpr, 0
	.section	.AMDGPU.csdata,"",@progbits
	.type	.str,@object                    ; @.str
	.section	.rodata.str1.1,"aMS",@progbits,1
.str:
	.asciz	"vectorized gather kernel index out of bounds"
	.size	.str, 45

	.type	.str.1,@object                  ; @.str.1
.str.1:
	.asciz	"vectorized scatter add kernel index out of bounds"
	.size	.str.1, 50

	.type	__hip_cuid_d9757150ca8db60d,@object ; @__hip_cuid_d9757150ca8db60d
	.section	.bss,"aw",@nobits
	.globl	__hip_cuid_d9757150ca8db60d
__hip_cuid_d9757150ca8db60d:
	.byte	0                               ; 0x0
	.size	__hip_cuid_d9757150ca8db60d, 1

	.ident	"AMD clang version 22.0.0git (https://github.com/RadeonOpenCompute/llvm-project roc-7.2.4 26084 f58b06dce1f9c15707c5f808fd002e18c2accf7e)"
	.section	".note.GNU-stack","",@progbits
	.addrsig
	.addrsig_sym __hip_cuid_d9757150ca8db60d
	.amdgpu_metadata
---
amdhsa.kernels:
  - .args:
      - .address_space:  global
        .offset:         0
        .size:           8
        .value_kind:     global_buffer
      - .address_space:  global
        .offset:         8
        .size:           8
        .value_kind:     global_buffer
      - .address_space:  global
        .offset:         16
        .size:           8
        .value_kind:     global_buffer
      - .offset:         24
        .size:           4
        .value_kind:     by_value
      - .offset:         32
        .size:           8
        .value_kind:     by_value
      - .offset:         40
        .size:           8
        .value_kind:     by_value
      - .offset:         48
        .size:           8
        .value_kind:     by_value
      - .offset:         56
        .size:           8
        .value_kind:     by_value
      - .offset:         64
        .size:           1
        .value_kind:     by_value
      - .offset:         72
        .size:           4
        .value_kind:     hidden_block_count_x
      - .offset:         76
        .size:           4
        .value_kind:     hidden_block_count_y
      - .offset:         80
        .size:           4
        .value_kind:     hidden_block_count_z
      - .offset:         84
        .size:           2
        .value_kind:     hidden_group_size_x
      - .offset:         86
        .size:           2
        .value_kind:     hidden_group_size_y
      - .offset:         88
        .size:           2
        .value_kind:     hidden_group_size_z
      - .offset:         90
        .size:           2
        .value_kind:     hidden_remainder_x
      - .offset:         92
        .size:           2
        .value_kind:     hidden_remainder_y
      - .offset:         94
        .size:           2
        .value_kind:     hidden_remainder_z
      - .offset:         112
        .size:           8
        .value_kind:     hidden_global_offset_x
      - .offset:         120
        .size:           8
        .value_kind:     hidden_global_offset_y
      - .offset:         128
        .size:           8
        .value_kind:     hidden_global_offset_z
      - .offset:         136
        .size:           2
        .value_kind:     hidden_grid_dims
    .group_segment_fixed_size: 0
    .kernarg_segment_align: 8
    .kernarg_segment_size: 328
    .language:       OpenCL C
    .language_version:
      - 2
      - 0
    .max_flat_workgroup_size: 1024
    .name:           _ZN2at6native24vectorized_gather_kernelILi16ElEEvPcS2_PT0_illllb
    .private_segment_fixed_size: 0
    .sgpr_count:     28
    .sgpr_spill_count: 0
    .symbol:         _ZN2at6native24vectorized_gather_kernelILi16ElEEvPcS2_PT0_illllb.kd
    .uniform_work_group_size: 1
    .uses_dynamic_stack: false
    .vgpr_count:     12
    .vgpr_spill_count: 0
    .wavefront_size: 64
  - .args:
      - .address_space:  global
        .offset:         0
        .size:           8
        .value_kind:     global_buffer
      - .address_space:  global
        .offset:         8
        .size:           8
        .value_kind:     global_buffer
      - .address_space:  global
        .offset:         16
        .size:           8
        .value_kind:     global_buffer
      - .offset:         24
        .size:           4
        .value_kind:     by_value
      - .offset:         32
        .size:           8
        .value_kind:     by_value
      - .offset:         40
        .size:           8
        .value_kind:     by_value
      - .offset:         48
        .size:           8
        .value_kind:     by_value
      - .offset:         56
        .size:           8
        .value_kind:     by_value
      - .offset:         64
        .size:           1
        .value_kind:     by_value
      - .offset:         72
        .size:           4
        .value_kind:     hidden_block_count_x
      - .offset:         76
        .size:           4
        .value_kind:     hidden_block_count_y
      - .offset:         80
        .size:           4
        .value_kind:     hidden_block_count_z
      - .offset:         84
        .size:           2
        .value_kind:     hidden_group_size_x
      - .offset:         86
        .size:           2
        .value_kind:     hidden_group_size_y
      - .offset:         88
        .size:           2
        .value_kind:     hidden_group_size_z
      - .offset:         90
        .size:           2
        .value_kind:     hidden_remainder_x
      - .offset:         92
        .size:           2
        .value_kind:     hidden_remainder_y
      - .offset:         94
        .size:           2
        .value_kind:     hidden_remainder_z
      - .offset:         112
        .size:           8
        .value_kind:     hidden_global_offset_x
      - .offset:         120
        .size:           8
        .value_kind:     hidden_global_offset_y
      - .offset:         128
        .size:           8
        .value_kind:     hidden_global_offset_z
      - .offset:         136
        .size:           2
        .value_kind:     hidden_grid_dims
    .group_segment_fixed_size: 0
    .kernarg_segment_align: 8
    .kernarg_segment_size: 328
    .language:       OpenCL C
    .language_version:
      - 2
      - 0
    .max_flat_workgroup_size: 1024
    .name:           _ZN2at6native24vectorized_gather_kernelILi16EiEEvPcS2_PT0_illllb
    .private_segment_fixed_size: 0
    .sgpr_count:     28
    .sgpr_spill_count: 0
    .symbol:         _ZN2at6native24vectorized_gather_kernelILi16EiEEvPcS2_PT0_illllb.kd
    .uniform_work_group_size: 1
    .uses_dynamic_stack: false
    .vgpr_count:     12
    .vgpr_spill_count: 0
    .wavefront_size: 64
  - .args:
      - .address_space:  global
        .offset:         0
        .size:           8
        .value_kind:     global_buffer
      - .actual_access:  read_only
        .address_space:  global
        .offset:         8
        .size:           8
        .value_kind:     global_buffer
      - .actual_access:  read_only
        .address_space:  global
        .offset:         16
        .size:           8
        .value_kind:     global_buffer
      - .offset:         24
        .size:           4
        .value_kind:     by_value
      - .offset:         32
        .size:           8
        .value_kind:     by_value
      - .offset:         40
        .size:           8
        .value_kind:     by_value
      - .offset:         48
        .size:           8
        .value_kind:     by_value
      - .offset:         56
        .size:           8
        .value_kind:     by_value
      - .offset:         64
        .size:           4
        .value_kind:     by_value
      - .offset:         68
        .size:           4
        .value_kind:     by_value
      - .offset:         72
        .size:           4
        .value_kind:     hidden_block_count_x
      - .offset:         76
        .size:           4
        .value_kind:     hidden_block_count_y
      - .offset:         80
        .size:           4
        .value_kind:     hidden_block_count_z
      - .offset:         84
        .size:           2
        .value_kind:     hidden_group_size_x
      - .offset:         86
        .size:           2
        .value_kind:     hidden_group_size_y
      - .offset:         88
        .size:           2
        .value_kind:     hidden_group_size_z
      - .offset:         90
        .size:           2
        .value_kind:     hidden_remainder_x
      - .offset:         92
        .size:           2
        .value_kind:     hidden_remainder_y
      - .offset:         94
        .size:           2
        .value_kind:     hidden_remainder_z
      - .offset:         112
        .size:           8
        .value_kind:     hidden_global_offset_x
      - .offset:         120
        .size:           8
        .value_kind:     hidden_global_offset_y
      - .offset:         128
        .size:           8
        .value_kind:     hidden_global_offset_z
      - .offset:         136
        .size:           2
        .value_kind:     hidden_grid_dims
    .group_segment_fixed_size: 0
    .kernarg_segment_align: 8
    .kernarg_segment_size: 328
    .language:       OpenCL C
    .language_version:
      - 2
      - 0
    .max_flat_workgroup_size: 1024
    .name:           _ZN2at6native29vectorized_scatter_add_kernelILi16EflEEvPT0_PKS2_PKT1_illllii
    .private_segment_fixed_size: 0
    .sgpr_count:     28
    .sgpr_spill_count: 0
    .symbol:         _ZN2at6native29vectorized_scatter_add_kernelILi16EflEEvPT0_PKS2_PKT1_illllii.kd
    .uniform_work_group_size: 1
    .uses_dynamic_stack: false
    .vgpr_count:     14
    .vgpr_spill_count: 0
    .wavefront_size: 64
  - .args:
      - .address_space:  global
        .offset:         0
        .size:           8
        .value_kind:     global_buffer
      - .actual_access:  read_only
        .address_space:  global
        .offset:         8
        .size:           8
        .value_kind:     global_buffer
      - .actual_access:  read_only
        .address_space:  global
        .offset:         16
        .size:           8
        .value_kind:     global_buffer
      - .offset:         24
        .size:           4
        .value_kind:     by_value
      - .offset:         32
        .size:           8
        .value_kind:     by_value
      - .offset:         40
        .size:           8
        .value_kind:     by_value
      - .offset:         48
        .size:           8
        .value_kind:     by_value
      - .offset:         56
        .size:           8
        .value_kind:     by_value
      - .offset:         64
        .size:           4
        .value_kind:     by_value
      - .offset:         68
        .size:           4
        .value_kind:     by_value
      - .offset:         72
        .size:           4
        .value_kind:     hidden_block_count_x
      - .offset:         76
        .size:           4
        .value_kind:     hidden_block_count_y
      - .offset:         80
        .size:           4
        .value_kind:     hidden_block_count_z
      - .offset:         84
        .size:           2
        .value_kind:     hidden_group_size_x
      - .offset:         86
        .size:           2
        .value_kind:     hidden_group_size_y
      - .offset:         88
        .size:           2
        .value_kind:     hidden_group_size_z
      - .offset:         90
        .size:           2
        .value_kind:     hidden_remainder_x
      - .offset:         92
        .size:           2
        .value_kind:     hidden_remainder_y
      - .offset:         94
        .size:           2
        .value_kind:     hidden_remainder_z
      - .offset:         112
        .size:           8
        .value_kind:     hidden_global_offset_x
      - .offset:         120
        .size:           8
        .value_kind:     hidden_global_offset_y
      - .offset:         128
        .size:           8
        .value_kind:     hidden_global_offset_z
      - .offset:         136
        .size:           2
        .value_kind:     hidden_grid_dims
    .group_segment_fixed_size: 0
    .kernarg_segment_align: 8
    .kernarg_segment_size: 328
    .language:       OpenCL C
    .language_version:
      - 2
      - 0
    .max_flat_workgroup_size: 1024
    .name:           _ZN2at6native29vectorized_scatter_add_kernelILi16EfiEEvPT0_PKS2_PKT1_illllii
    .private_segment_fixed_size: 0
    .sgpr_count:     28
    .sgpr_spill_count: 0
    .symbol:         _ZN2at6native29vectorized_scatter_add_kernelILi16EfiEEvPT0_PKS2_PKT1_illllii.kd
    .uniform_work_group_size: 1
    .uses_dynamic_stack: false
    .vgpr_count:     14
    .vgpr_spill_count: 0
    .wavefront_size: 64
  - .args:
      - .address_space:  global
        .offset:         0
        .size:           8
        .value_kind:     global_buffer
      - .actual_access:  read_only
        .address_space:  global
        .offset:         8
        .size:           8
        .value_kind:     global_buffer
      - .actual_access:  read_only
        .address_space:  global
        .offset:         16
        .size:           8
        .value_kind:     global_buffer
      - .offset:         24
        .size:           4
        .value_kind:     by_value
      - .offset:         32
        .size:           8
        .value_kind:     by_value
      - .offset:         40
        .size:           8
        .value_kind:     by_value
      - .offset:         48
        .size:           8
        .value_kind:     by_value
      - .offset:         56
        .size:           8
        .value_kind:     by_value
      - .offset:         64
        .size:           4
        .value_kind:     by_value
      - .offset:         68
        .size:           4
        .value_kind:     by_value
      - .offset:         72
        .size:           4
        .value_kind:     hidden_block_count_x
      - .offset:         76
        .size:           4
        .value_kind:     hidden_block_count_y
      - .offset:         80
        .size:           4
        .value_kind:     hidden_block_count_z
      - .offset:         84
        .size:           2
        .value_kind:     hidden_group_size_x
      - .offset:         86
        .size:           2
        .value_kind:     hidden_group_size_y
      - .offset:         88
        .size:           2
        .value_kind:     hidden_group_size_z
      - .offset:         90
        .size:           2
        .value_kind:     hidden_remainder_x
      - .offset:         92
        .size:           2
        .value_kind:     hidden_remainder_y
      - .offset:         94
        .size:           2
        .value_kind:     hidden_remainder_z
      - .offset:         112
        .size:           8
        .value_kind:     hidden_global_offset_x
      - .offset:         120
        .size:           8
        .value_kind:     hidden_global_offset_y
      - .offset:         128
        .size:           8
        .value_kind:     hidden_global_offset_z
      - .offset:         136
        .size:           2
        .value_kind:     hidden_grid_dims
    .group_segment_fixed_size: 0
    .kernarg_segment_align: 8
    .kernarg_segment_size: 328
    .language:       OpenCL C
    .language_version:
      - 2
      - 0
    .max_flat_workgroup_size: 1024
    .name:           _ZN2at6native29vectorized_scatter_add_kernelILi16EdlEEvPT0_PKS2_PKT1_illllii
    .private_segment_fixed_size: 0
    .sgpr_count:     28
    .sgpr_spill_count: 0
    .symbol:         _ZN2at6native29vectorized_scatter_add_kernelILi16EdlEEvPT0_PKS2_PKT1_illllii.kd
    .uniform_work_group_size: 1
    .uses_dynamic_stack: false
    .vgpr_count:     16
    .vgpr_spill_count: 0
    .wavefront_size: 64
  - .args:
      - .address_space:  global
        .offset:         0
        .size:           8
        .value_kind:     global_buffer
      - .actual_access:  read_only
        .address_space:  global
        .offset:         8
        .size:           8
        .value_kind:     global_buffer
      - .actual_access:  read_only
        .address_space:  global
        .offset:         16
        .size:           8
        .value_kind:     global_buffer
      - .offset:         24
        .size:           4
        .value_kind:     by_value
      - .offset:         32
        .size:           8
        .value_kind:     by_value
      - .offset:         40
        .size:           8
        .value_kind:     by_value
      - .offset:         48
        .size:           8
        .value_kind:     by_value
      - .offset:         56
        .size:           8
        .value_kind:     by_value
      - .offset:         64
        .size:           4
        .value_kind:     by_value
      - .offset:         68
        .size:           4
        .value_kind:     by_value
      - .offset:         72
        .size:           4
        .value_kind:     hidden_block_count_x
      - .offset:         76
        .size:           4
        .value_kind:     hidden_block_count_y
      - .offset:         80
        .size:           4
        .value_kind:     hidden_block_count_z
      - .offset:         84
        .size:           2
        .value_kind:     hidden_group_size_x
      - .offset:         86
        .size:           2
        .value_kind:     hidden_group_size_y
      - .offset:         88
        .size:           2
        .value_kind:     hidden_group_size_z
      - .offset:         90
        .size:           2
        .value_kind:     hidden_remainder_x
      - .offset:         92
        .size:           2
        .value_kind:     hidden_remainder_y
      - .offset:         94
        .size:           2
        .value_kind:     hidden_remainder_z
      - .offset:         112
        .size:           8
        .value_kind:     hidden_global_offset_x
      - .offset:         120
        .size:           8
        .value_kind:     hidden_global_offset_y
      - .offset:         128
        .size:           8
        .value_kind:     hidden_global_offset_z
      - .offset:         136
        .size:           2
        .value_kind:     hidden_grid_dims
    .group_segment_fixed_size: 0
    .kernarg_segment_align: 8
    .kernarg_segment_size: 328
    .language:       OpenCL C
    .language_version:
      - 2
      - 0
    .max_flat_workgroup_size: 1024
    .name:           _ZN2at6native29vectorized_scatter_add_kernelILi16EdiEEvPT0_PKS2_PKT1_illllii
    .private_segment_fixed_size: 0
    .sgpr_count:     28
    .sgpr_spill_count: 0
    .symbol:         _ZN2at6native29vectorized_scatter_add_kernelILi16EdiEEvPT0_PKS2_PKT1_illllii.kd
    .uniform_work_group_size: 1
    .uses_dynamic_stack: false
    .vgpr_count:     16
    .vgpr_spill_count: 0
    .wavefront_size: 64
  - .args:
      - .address_space:  global
        .offset:         0
        .size:           8
        .value_kind:     global_buffer
      - .actual_access:  read_only
        .address_space:  global
        .offset:         8
        .size:           8
        .value_kind:     global_buffer
      - .actual_access:  read_only
        .address_space:  global
        .offset:         16
        .size:           8
        .value_kind:     global_buffer
      - .offset:         24
        .size:           4
        .value_kind:     by_value
      - .offset:         32
        .size:           8
        .value_kind:     by_value
      - .offset:         40
        .size:           8
        .value_kind:     by_value
      - .offset:         48
        .size:           8
        .value_kind:     by_value
      - .offset:         56
        .size:           8
        .value_kind:     by_value
      - .offset:         64
        .size:           4
        .value_kind:     by_value
      - .offset:         68
        .size:           4
        .value_kind:     by_value
      - .offset:         72
        .size:           4
        .value_kind:     hidden_block_count_x
      - .offset:         76
        .size:           4
        .value_kind:     hidden_block_count_y
      - .offset:         80
        .size:           4
        .value_kind:     hidden_block_count_z
      - .offset:         84
        .size:           2
        .value_kind:     hidden_group_size_x
      - .offset:         86
        .size:           2
        .value_kind:     hidden_group_size_y
      - .offset:         88
        .size:           2
        .value_kind:     hidden_group_size_z
      - .offset:         90
        .size:           2
        .value_kind:     hidden_remainder_x
      - .offset:         92
        .size:           2
        .value_kind:     hidden_remainder_y
      - .offset:         94
        .size:           2
        .value_kind:     hidden_remainder_z
      - .offset:         112
        .size:           8
        .value_kind:     hidden_global_offset_x
      - .offset:         120
        .size:           8
        .value_kind:     hidden_global_offset_y
      - .offset:         128
        .size:           8
        .value_kind:     hidden_global_offset_z
      - .offset:         136
        .size:           2
        .value_kind:     hidden_grid_dims
    .group_segment_fixed_size: 0
    .kernarg_segment_align: 8
    .kernarg_segment_size: 328
    .language:       OpenCL C
    .language_version:
      - 2
      - 0
    .max_flat_workgroup_size: 1024
    .name:           _ZN2at6native29vectorized_scatter_add_kernelILi16EN3c104HalfElEEvPT0_PKS4_PKT1_illllii
    .private_segment_fixed_size: 0
    .sgpr_count:     28
    .sgpr_spill_count: 0
    .symbol:         _ZN2at6native29vectorized_scatter_add_kernelILi16EN3c104HalfElEEvPT0_PKS4_PKT1_illllii.kd
    .uniform_work_group_size: 1
    .uses_dynamic_stack: false
    .vgpr_count:     17
    .vgpr_spill_count: 0
    .wavefront_size: 64
  - .args:
      - .address_space:  global
        .offset:         0
        .size:           8
        .value_kind:     global_buffer
      - .actual_access:  read_only
        .address_space:  global
        .offset:         8
        .size:           8
        .value_kind:     global_buffer
      - .actual_access:  read_only
        .address_space:  global
        .offset:         16
        .size:           8
        .value_kind:     global_buffer
      - .offset:         24
        .size:           4
        .value_kind:     by_value
      - .offset:         32
        .size:           8
        .value_kind:     by_value
      - .offset:         40
        .size:           8
        .value_kind:     by_value
      - .offset:         48
        .size:           8
        .value_kind:     by_value
      - .offset:         56
        .size:           8
        .value_kind:     by_value
      - .offset:         64
        .size:           4
        .value_kind:     by_value
      - .offset:         68
        .size:           4
        .value_kind:     by_value
      - .offset:         72
        .size:           4
        .value_kind:     hidden_block_count_x
      - .offset:         76
        .size:           4
        .value_kind:     hidden_block_count_y
      - .offset:         80
        .size:           4
        .value_kind:     hidden_block_count_z
      - .offset:         84
        .size:           2
        .value_kind:     hidden_group_size_x
      - .offset:         86
        .size:           2
        .value_kind:     hidden_group_size_y
      - .offset:         88
        .size:           2
        .value_kind:     hidden_group_size_z
      - .offset:         90
        .size:           2
        .value_kind:     hidden_remainder_x
      - .offset:         92
        .size:           2
        .value_kind:     hidden_remainder_y
      - .offset:         94
        .size:           2
        .value_kind:     hidden_remainder_z
      - .offset:         112
        .size:           8
        .value_kind:     hidden_global_offset_x
      - .offset:         120
        .size:           8
        .value_kind:     hidden_global_offset_y
      - .offset:         128
        .size:           8
        .value_kind:     hidden_global_offset_z
      - .offset:         136
        .size:           2
        .value_kind:     hidden_grid_dims
    .group_segment_fixed_size: 0
    .kernarg_segment_align: 8
    .kernarg_segment_size: 328
    .language:       OpenCL C
    .language_version:
      - 2
      - 0
    .max_flat_workgroup_size: 1024
    .name:           _ZN2at6native29vectorized_scatter_add_kernelILi16EN3c104HalfEiEEvPT0_PKS4_PKT1_illllii
    .private_segment_fixed_size: 0
    .sgpr_count:     28
    .sgpr_spill_count: 0
    .symbol:         _ZN2at6native29vectorized_scatter_add_kernelILi16EN3c104HalfEiEEvPT0_PKS4_PKT1_illllii.kd
    .uniform_work_group_size: 1
    .uses_dynamic_stack: false
    .vgpr_count:     17
    .vgpr_spill_count: 0
    .wavefront_size: 64
  - .args:
      - .address_space:  global
        .offset:         0
        .size:           8
        .value_kind:     global_buffer
      - .actual_access:  read_only
        .address_space:  global
        .offset:         8
        .size:           8
        .value_kind:     global_buffer
      - .actual_access:  read_only
        .address_space:  global
        .offset:         16
        .size:           8
        .value_kind:     global_buffer
      - .offset:         24
        .size:           4
        .value_kind:     by_value
      - .offset:         32
        .size:           8
        .value_kind:     by_value
      - .offset:         40
        .size:           8
        .value_kind:     by_value
      - .offset:         48
        .size:           8
        .value_kind:     by_value
      - .offset:         56
        .size:           8
        .value_kind:     by_value
      - .offset:         64
        .size:           4
        .value_kind:     by_value
      - .offset:         68
        .size:           4
        .value_kind:     by_value
      - .offset:         72
        .size:           4
        .value_kind:     hidden_block_count_x
      - .offset:         76
        .size:           4
        .value_kind:     hidden_block_count_y
      - .offset:         80
        .size:           4
        .value_kind:     hidden_block_count_z
      - .offset:         84
        .size:           2
        .value_kind:     hidden_group_size_x
      - .offset:         86
        .size:           2
        .value_kind:     hidden_group_size_y
      - .offset:         88
        .size:           2
        .value_kind:     hidden_group_size_z
      - .offset:         90
        .size:           2
        .value_kind:     hidden_remainder_x
      - .offset:         92
        .size:           2
        .value_kind:     hidden_remainder_y
      - .offset:         94
        .size:           2
        .value_kind:     hidden_remainder_z
      - .offset:         112
        .size:           8
        .value_kind:     hidden_global_offset_x
      - .offset:         120
        .size:           8
        .value_kind:     hidden_global_offset_y
      - .offset:         128
        .size:           8
        .value_kind:     hidden_global_offset_z
      - .offset:         136
        .size:           2
        .value_kind:     hidden_grid_dims
    .group_segment_fixed_size: 0
    .kernarg_segment_align: 8
    .kernarg_segment_size: 328
    .language:       OpenCL C
    .language_version:
      - 2
      - 0
    .max_flat_workgroup_size: 1024
    .name:           _ZN2at6native29vectorized_scatter_add_kernelILi16EN3c108BFloat16ElEEvPT0_PKS4_PKT1_illllii
    .private_segment_fixed_size: 0
    .sgpr_count:     28
    .sgpr_spill_count: 0
    .symbol:         _ZN2at6native29vectorized_scatter_add_kernelILi16EN3c108BFloat16ElEEvPT0_PKS4_PKT1_illllii.kd
    .uniform_work_group_size: 1
    .uses_dynamic_stack: false
    .vgpr_count:     20
    .vgpr_spill_count: 0
    .wavefront_size: 64
  - .args:
      - .address_space:  global
        .offset:         0
        .size:           8
        .value_kind:     global_buffer
      - .actual_access:  read_only
        .address_space:  global
        .offset:         8
        .size:           8
        .value_kind:     global_buffer
      - .actual_access:  read_only
        .address_space:  global
        .offset:         16
        .size:           8
        .value_kind:     global_buffer
      - .offset:         24
        .size:           4
        .value_kind:     by_value
      - .offset:         32
        .size:           8
        .value_kind:     by_value
      - .offset:         40
        .size:           8
        .value_kind:     by_value
      - .offset:         48
        .size:           8
        .value_kind:     by_value
      - .offset:         56
        .size:           8
        .value_kind:     by_value
      - .offset:         64
        .size:           4
        .value_kind:     by_value
      - .offset:         68
        .size:           4
        .value_kind:     by_value
      - .offset:         72
        .size:           4
        .value_kind:     hidden_block_count_x
      - .offset:         76
        .size:           4
        .value_kind:     hidden_block_count_y
      - .offset:         80
        .size:           4
        .value_kind:     hidden_block_count_z
      - .offset:         84
        .size:           2
        .value_kind:     hidden_group_size_x
      - .offset:         86
        .size:           2
        .value_kind:     hidden_group_size_y
      - .offset:         88
        .size:           2
        .value_kind:     hidden_group_size_z
      - .offset:         90
        .size:           2
        .value_kind:     hidden_remainder_x
      - .offset:         92
        .size:           2
        .value_kind:     hidden_remainder_y
      - .offset:         94
        .size:           2
        .value_kind:     hidden_remainder_z
      - .offset:         112
        .size:           8
        .value_kind:     hidden_global_offset_x
      - .offset:         120
        .size:           8
        .value_kind:     hidden_global_offset_y
      - .offset:         128
        .size:           8
        .value_kind:     hidden_global_offset_z
      - .offset:         136
        .size:           2
        .value_kind:     hidden_grid_dims
    .group_segment_fixed_size: 0
    .kernarg_segment_align: 8
    .kernarg_segment_size: 328
    .language:       OpenCL C
    .language_version:
      - 2
      - 0
    .max_flat_workgroup_size: 1024
    .name:           _ZN2at6native29vectorized_scatter_add_kernelILi16EN3c108BFloat16EiEEvPT0_PKS4_PKT1_illllii
    .private_segment_fixed_size: 0
    .sgpr_count:     28
    .sgpr_spill_count: 0
    .symbol:         _ZN2at6native29vectorized_scatter_add_kernelILi16EN3c108BFloat16EiEEvPT0_PKS4_PKT1_illllii.kd
    .uniform_work_group_size: 1
    .uses_dynamic_stack: false
    .vgpr_count:     20
    .vgpr_spill_count: 0
    .wavefront_size: 64
amdhsa.target:   amdgcn-amd-amdhsa--gfx906
amdhsa.version:
  - 1
  - 2
...

	.end_amdgpu_metadata
